;; amdgpu-corpus repo=ROCm/rocFFT kind=compiled arch=gfx906 opt=O3
	.text
	.amdgcn_target "amdgcn-amd-amdhsa--gfx906"
	.amdhsa_code_object_version 6
	.protected	bluestein_single_fwd_len1820_dim1_half_op_CI_CI ; -- Begin function bluestein_single_fwd_len1820_dim1_half_op_CI_CI
	.globl	bluestein_single_fwd_len1820_dim1_half_op_CI_CI
	.p2align	8
	.type	bluestein_single_fwd_len1820_dim1_half_op_CI_CI,@function
bluestein_single_fwd_len1820_dim1_half_op_CI_CI: ; @bluestein_single_fwd_len1820_dim1_half_op_CI_CI
; %bb.0:
	s_load_dwordx4 s[8:11], s[4:5], 0x28
	v_mul_u32_u24_e32 v1, 0x169, v0
	v_add_u32_sdwa v20, s6, v1 dst_sel:DWORD dst_unused:UNUSED_PAD src0_sel:DWORD src1_sel:WORD_1
	v_mov_b32_e32 v21, 0
	s_waitcnt lgkmcnt(0)
	v_cmp_gt_u64_e32 vcc, s[8:9], v[20:21]
	s_and_saveexec_b64 s[0:1], vcc
	s_cbranch_execz .LBB0_18
; %bb.1:
	s_load_dwordx4 s[0:3], s[4:5], 0x18
	s_load_dwordx4 s[12:15], s[4:5], 0x0
	s_movk_i32 s8, 0x1000
                                        ; implicit-def: $vgpr56
                                        ; implicit-def: $vgpr55
                                        ; implicit-def: $vgpr57
                                        ; implicit-def: $vgpr58
	s_waitcnt lgkmcnt(0)
	s_load_dwordx4 s[16:19], s[0:1], 0x0
	s_movk_i32 s0, 0xb6
	v_mul_lo_u16_sdwa v1, v1, s0 dst_sel:DWORD dst_unused:UNUSED_PAD src0_sel:WORD_1 src1_sel:DWORD
	v_sub_u16_e32 v49, v0, v1
	v_lshlrev_b32_e32 v51, 2, v49
	s_waitcnt lgkmcnt(0)
	v_mad_u64_u32 v[0:1], s[0:1], s18, v20, 0
	v_mad_u64_u32 v[2:3], s[0:1], s16, v49, 0
	s_mul_i32 s6, s17, 0x2d8
	s_mul_hi_u32 s7, s16, 0x2d8
	v_mad_u64_u32 v[4:5], s[0:1], s19, v20, v[1:2]
	s_add_i32 s6, s7, s6
	s_mul_i32 s7, s16, 0x2d8
	v_mad_u64_u32 v[5:6], s[0:1], s17, v49, v[3:4]
	v_mov_b32_e32 v1, v4
	v_lshlrev_b64 v[0:1], 2, v[0:1]
	v_mov_b32_e32 v6, s11
	v_mov_b32_e32 v3, v5
	v_add_co_u32_e32 v4, vcc, s10, v0
	v_addc_co_u32_e32 v5, vcc, v6, v1, vcc
	v_lshlrev_b64 v[0:1], 2, v[2:3]
	v_mov_b32_e32 v2, s13
	v_add_co_u32_e32 v0, vcc, v4, v0
	v_add_co_u32_e64 v28, s[0:1], s12, v51
	v_addc_co_u32_e32 v1, vcc, v5, v1, vcc
	v_addc_co_u32_e64 v4, vcc, 0, v2, s[0:1]
	v_mov_b32_e32 v3, s6
	v_add_co_u32_e32 v2, vcc, s7, v0
	v_addc_co_u32_e32 v3, vcc, v1, v3, vcc
	global_load_dword v5, v[0:1], off
	global_load_dword v6, v[2:3], off
	global_load_dword v50, v51, s[12:13]
	global_load_dword v48, v51, s[12:13] offset:728
	v_mov_b32_e32 v1, s6
	v_add_co_u32_e32 v0, vcc, s7, v2
	v_addc_co_u32_e32 v1, vcc, v3, v1, vcc
	v_mov_b32_e32 v3, s6
	v_add_co_u32_e32 v2, vcc, s7, v0
	v_addc_co_u32_e32 v3, vcc, v1, v3, vcc
	global_load_dword v7, v[0:1], off
	global_load_dword v8, v[2:3], off
	global_load_dword v47, v51, s[12:13] offset:1456
	global_load_dword v46, v51, s[12:13] offset:2184
	v_mov_b32_e32 v1, s6
	v_add_co_u32_e32 v0, vcc, s7, v2
	v_addc_co_u32_e32 v1, vcc, v3, v1, vcc
	global_load_dword v9, v[0:1], off
	v_mov_b32_e32 v2, s6
	v_add_co_u32_e32 v0, vcc, s7, v0
	v_addc_co_u32_e32 v1, vcc, v1, v2, vcc
	global_load_dword v10, v[0:1], off
	global_load_dword v45, v51, s[12:13] offset:2912
	global_load_dword v44, v51, s[12:13] offset:3640
	v_add_co_u32_e32 v0, vcc, s7, v0
	v_addc_co_u32_e32 v1, vcc, v1, v2, vcc
	v_add_co_u32_e32 v2, vcc, s8, v28
	global_load_dword v11, v[0:1], off
	v_addc_co_u32_e32 v3, vcc, 0, v4, vcc
	global_load_dword v43, v[2:3], off offset:272
	v_mov_b32_e32 v4, s6
	v_add_co_u32_e32 v0, vcc, s7, v0
	v_addc_co_u32_e32 v1, vcc, v1, v4, vcc
	global_load_dword v4, v[0:1], off
	global_load_dword v42, v[2:3], off offset:1000
	v_mov_b32_e32 v12, s6
	v_add_co_u32_e32 v0, vcc, s7, v0
	v_addc_co_u32_e32 v1, vcc, v1, v12, vcc
	global_load_dword v12, v[0:1], off
	;; [unrolled: 5-line block ×3, first 2 shown]
	global_load_dword v40, v[2:3], off offset:2456
	s_load_dwordx4 s[8:11], s[2:3], 0x0
	s_movk_i32 s2, 0x3b9c
	s_mov_b32 s7, 0xbb9c
	s_movk_i32 s3, 0x38b4
	s_mov_b32 s12, 0xb8b4
	s_movk_i32 s6, 0x34f2
	s_movk_i32 s16, 0x3a79
	s_waitcnt vmcnt(19)
	v_lshrrev_b32_e32 v0, 16, v5
	s_waitcnt vmcnt(17)
	v_mul_f16_sdwa v1, v50, v0 dst_sel:DWORD dst_unused:UNUSED_PAD src0_sel:WORD_1 src1_sel:DWORD
	v_mul_f16_sdwa v2, v50, v5 dst_sel:DWORD dst_unused:UNUSED_PAD src0_sel:WORD_1 src1_sel:DWORD
	v_fma_f16 v1, v50, v5, v1
	v_fma_f16 v0, v50, v0, -v2
	v_pack_b32_f16 v0, v1, v0
	v_lshrrev_b32_e32 v1, 16, v6
	s_waitcnt vmcnt(16)
	v_mul_f16_sdwa v2, v48, v1 dst_sel:DWORD dst_unused:UNUSED_PAD src0_sel:WORD_1 src1_sel:DWORD
	v_mul_f16_sdwa v3, v48, v6 dst_sel:DWORD dst_unused:UNUSED_PAD src0_sel:WORD_1 src1_sel:DWORD
	v_fma_f16 v2, v48, v6, v2
	v_fma_f16 v1, v48, v1, -v3
	v_pack_b32_f16 v1, v2, v1
	ds_write2_b32 v51, v0, v1 offset1:182
	s_waitcnt vmcnt(15)
	v_lshrrev_b32_e32 v0, 16, v7
	s_waitcnt vmcnt(13)
	v_mul_f16_sdwa v1, v47, v0 dst_sel:DWORD dst_unused:UNUSED_PAD src0_sel:WORD_1 src1_sel:DWORD
	v_mul_f16_sdwa v2, v47, v7 dst_sel:DWORD dst_unused:UNUSED_PAD src0_sel:WORD_1 src1_sel:DWORD
	v_fma_f16 v1, v47, v7, v1
	v_fma_f16 v0, v47, v0, -v2
	v_pack_b32_f16 v0, v1, v0
	v_lshrrev_b32_e32 v1, 16, v8
	s_waitcnt vmcnt(12)
	v_mul_f16_sdwa v2, v46, v1 dst_sel:DWORD dst_unused:UNUSED_PAD src0_sel:WORD_1 src1_sel:DWORD
	v_mul_f16_sdwa v3, v46, v8 dst_sel:DWORD dst_unused:UNUSED_PAD src0_sel:WORD_1 src1_sel:DWORD
	v_fma_f16 v2, v46, v8, v2
	v_fma_f16 v1, v46, v1, -v3
	v_pack_b32_f16 v1, v2, v1
	v_add_u32_e32 v5, 0x500, v51
	ds_write2_b32 v5, v0, v1 offset0:44 offset1:226
	s_waitcnt vmcnt(11)
	v_lshrrev_b32_e32 v0, 16, v9
	s_waitcnt vmcnt(9)
	v_mul_f16_sdwa v1, v45, v0 dst_sel:DWORD dst_unused:UNUSED_PAD src0_sel:WORD_1 src1_sel:DWORD
	v_mul_f16_sdwa v2, v45, v9 dst_sel:DWORD dst_unused:UNUSED_PAD src0_sel:WORD_1 src1_sel:DWORD
	v_fma_f16 v1, v45, v9, v1
	v_fma_f16 v0, v45, v0, -v2
	v_pack_b32_f16 v0, v1, v0
	v_lshrrev_b32_e32 v1, 16, v10
	s_waitcnt vmcnt(8)
	v_mul_f16_sdwa v2, v44, v1 dst_sel:DWORD dst_unused:UNUSED_PAD src0_sel:WORD_1 src1_sel:DWORD
	v_mul_f16_sdwa v3, v44, v10 dst_sel:DWORD dst_unused:UNUSED_PAD src0_sel:WORD_1 src1_sel:DWORD
	v_fma_f16 v2, v44, v10, v2
	v_fma_f16 v1, v44, v1, -v3
	v_pack_b32_f16 v1, v2, v1
	v_add_u32_e32 v2, 0xb00, v51
	ds_write2_b32 v2, v0, v1 offset0:24 offset1:206
	s_waitcnt vmcnt(7)
	v_lshrrev_b32_e32 v0, 16, v11
	s_waitcnt vmcnt(6)
	v_mul_f16_sdwa v1, v43, v0 dst_sel:DWORD dst_unused:UNUSED_PAD src0_sel:WORD_1 src1_sel:DWORD
	v_mul_f16_sdwa v3, v43, v11 dst_sel:DWORD dst_unused:UNUSED_PAD src0_sel:WORD_1 src1_sel:DWORD
	v_fma_f16 v1, v43, v11, v1
	v_fma_f16 v0, v43, v0, -v3
	v_pack_b32_f16 v1, v1, v0
	s_waitcnt vmcnt(5)
	v_lshrrev_b32_e32 v0, 16, v4
	s_waitcnt vmcnt(4)
	v_mul_f16_sdwa v3, v42, v0 dst_sel:DWORD dst_unused:UNUSED_PAD src0_sel:WORD_1 src1_sel:DWORD
	v_fma_f16 v3, v42, v4, v3
	v_mul_f16_sdwa v4, v42, v4 dst_sel:DWORD dst_unused:UNUSED_PAD src0_sel:WORD_1 src1_sel:DWORD
	v_fma_f16 v0, v42, v0, -v4
	v_pack_b32_f16 v3, v3, v0
	v_add_u32_e32 v0, 0x1000, v51
	ds_write2_b32 v0, v1, v3 offset0:68 offset1:250
	s_waitcnt vmcnt(3)
	v_lshrrev_b32_e32 v1, 16, v12
	s_waitcnt vmcnt(2)
	v_mul_f16_sdwa v3, v41, v1 dst_sel:DWORD dst_unused:UNUSED_PAD src0_sel:WORD_1 src1_sel:DWORD
	v_mul_f16_sdwa v4, v41, v12 dst_sel:DWORD dst_unused:UNUSED_PAD src0_sel:WORD_1 src1_sel:DWORD
	v_fma_f16 v3, v41, v12, v3
	v_fma_f16 v1, v41, v1, -v4
	v_pack_b32_f16 v1, v3, v1
	s_waitcnt vmcnt(1)
	v_lshrrev_b32_e32 v3, 16, v13
	s_waitcnt vmcnt(0)
	v_mul_f16_sdwa v4, v40, v3 dst_sel:DWORD dst_unused:UNUSED_PAD src0_sel:WORD_1 src1_sel:DWORD
	v_mul_f16_sdwa v6, v40, v13 dst_sel:DWORD dst_unused:UNUSED_PAD src0_sel:WORD_1 src1_sel:DWORD
	v_fma_f16 v4, v40, v13, v4
	v_fma_f16 v3, v40, v3, -v6
	v_pack_b32_f16 v3, v4, v3
	v_add_u32_e32 v9, 0x1600, v51
	ds_write2_b32 v9, v1, v3 offset0:48 offset1:230
	s_waitcnt lgkmcnt(0)
	s_barrier
	ds_read2_b32 v[1:2], v2 offset0:24 offset1:206
	ds_read2_b32 v[3:4], v0 offset0:68 offset1:250
	;; [unrolled: 1-line block ×3, first 2 shown]
	ds_read2_b32 v[7:8], v51 offset1:182
	s_waitcnt lgkmcnt(2)
	v_sub_f16_sdwa v21, v1, v3 dst_sel:DWORD dst_unused:UNUSED_PAD src0_sel:WORD_1 src1_sel:WORD_1
	s_waitcnt lgkmcnt(1)
	v_sub_f16_e32 v12, v5, v1
	s_waitcnt lgkmcnt(0)
	v_pk_add_f16 v10, v7, v5
	v_pk_add_f16 v14, v10, v1
	;; [unrolled: 1-line block ×4, first 2 shown]
	ds_read2_b32 v[9:10], v9 offset0:48 offset1:230
	v_sub_f16_e32 v13, v1, v5
	v_pk_add_f16 v14, v14, v3
	v_add_f16_e32 v11, v1, v3
	v_add_f16_sdwa v15, v1, v3 dst_sel:DWORD dst_unused:UNUSED_PAD src0_sel:WORD_1 src1_sel:WORD_1
	s_waitcnt lgkmcnt(0)
	v_add_f16_e32 v30, v5, v9
	v_sub_f16_e32 v34, v9, v3
	v_sub_f16_e32 v35, v3, v9
	v_add_f16_e32 v53, v12, v34
	v_add_f16_e32 v12, v13, v35
	v_fma_f16 v13, v30, -0.5, v7
	v_sub_f16_e32 v22, v1, v3
	v_sub_f16_sdwa v17, v5, v1 dst_sel:DWORD dst_unused:UNUSED_PAD src0_sel:WORD_1 src1_sel:WORD_1
	v_sub_f16_sdwa v1, v1, v5 dst_sel:DWORD dst_unused:UNUSED_PAD src0_sel:WORD_1 src1_sel:WORD_1
	v_sub_f16_sdwa v29, v5, v9 dst_sel:DWORD dst_unused:UNUSED_PAD src0_sel:WORD_1 src1_sel:WORD_1
	v_sub_f16_e32 v31, v5, v9
	v_add_f16_sdwa v5, v5, v9 dst_sel:DWORD dst_unused:UNUSED_PAD src0_sel:WORD_1 src1_sel:WORD_1
	v_sub_f16_sdwa v37, v9, v3 dst_sel:DWORD dst_unused:UNUSED_PAD src0_sel:WORD_1 src1_sel:WORD_1
	v_sub_f16_sdwa v3, v3, v9 dst_sel:DWORD dst_unused:UNUSED_PAD src0_sel:WORD_1 src1_sel:WORD_1
	v_pk_add_f16 v9, v14, v9
	v_fma_f16 v14, v21, s7, v13
	v_fma_f16 v13, v21, s2, v13
	v_pk_add_f16 v16, v16, v4
	v_fma_f16 v14, v29, s3, v14
	v_fma_f16 v13, v29, s12, v13
	v_add_f16_e32 v18, v2, v4
	v_sub_f16_sdwa v23, v2, v4 dst_sel:DWORD dst_unused:UNUSED_PAD src0_sel:WORD_1 src1_sel:WORD_1
	v_sub_f16_e32 v19, v6, v2
	v_sub_f16_e32 v24, v2, v6
	v_add_f16_sdwa v25, v2, v4 dst_sel:DWORD dst_unused:UNUSED_PAD src0_sel:WORD_1 src1_sel:WORD_1
	v_sub_f16_e32 v26, v2, v4
	v_sub_f16_sdwa v27, v6, v2 dst_sel:DWORD dst_unused:UNUSED_PAD src0_sel:WORD_1 src1_sel:WORD_1
	v_sub_f16_sdwa v2, v2, v6 dst_sel:DWORD dst_unused:UNUSED_PAD src0_sel:WORD_1 src1_sel:WORD_1
	;; [unrolled: 1-line block ×3, first 2 shown]
	v_add_f16_e32 v33, v6, v10
	v_sub_f16_e32 v36, v6, v10
	v_add_f16_sdwa v6, v6, v10 dst_sel:DWORD dst_unused:UNUSED_PAD src0_sel:WORD_1 src1_sel:WORD_1
	v_sub_f16_e32 v38, v10, v4
	v_sub_f16_e32 v39, v4, v10
	v_sub_f16_sdwa v52, v10, v4 dst_sel:DWORD dst_unused:UNUSED_PAD src0_sel:WORD_1 src1_sel:WORD_1
	v_sub_f16_sdwa v4, v4, v10 dst_sel:DWORD dst_unused:UNUSED_PAD src0_sel:WORD_1 src1_sel:WORD_1
	v_pk_add_f16 v10, v16, v10
	v_fma_f16 v16, v12, s6, v14
	v_fma_f16 v30, v12, s6, v13
	v_lshrrev_b32_e32 v12, 16, v7
	v_fma_f16 v54, v15, -0.5, v12
	v_fma_f16 v5, v5, -0.5, v12
	;; [unrolled: 1-line block ×5, first 2 shown]
	v_lshrrev_b32_e32 v8, 16, v8
	v_fma_f16 v6, v6, -0.5, v8
	v_add_f16_e32 v2, v2, v4
	v_fma_f16 v4, v26, s2, v6
	v_fma_f16 v6, v26, s7, v6
	;; [unrolled: 1-line block ×4, first 2 shown]
	v_add_f16_e32 v1, v1, v3
	v_fma_f16 v3, v22, s2, v5
	v_fma_f16 v5, v22, s7, v5
	v_fma_f16 v25, v25, -0.5, v8
	v_fma_f16 v4, v2, s6, v4
	v_fma_f16 v2, v2, s6, v6
	v_fma_f16 v6, v32, s2, v11
	v_fma_f16 v3, v31, s12, v3
	v_fma_f16 v5, v31, s3, v5
	v_add_f16_e32 v38, v19, v38
	v_fma_f16 v13, v23, s7, v12
	v_fma_f16 v12, v23, s2, v12
	;; [unrolled: 1-line block ×6, first 2 shown]
	v_add_f16_e32 v1, v24, v39
	v_fma_f16 v13, v32, s3, v13
	v_fma_f16 v12, v32, s12, v12
	v_add_f16_e32 v24, v27, v52
	v_fma_f16 v6, v38, s6, v6
	v_fma_f16 v8, v26, s12, v8
	;; [unrolled: 1-line block ×5, first 2 shown]
	v_mul_f16_e32 v12, 0x3a79, v6
	v_mul_f16_e32 v6, 0xb8b4, v6
	v_fma_f16 v12, v8, s3, v12
	v_fma_f16 v6, v8, s16, v6
	v_mul_f16_e32 v8, 0x3b9c, v4
	v_fma_f16 v8, v13, s6, v8
	v_mul_f16_e32 v13, 0xbb9c, v13
	;; [unrolled: 2-line block ×3, first 2 shown]
	v_fma_f16 v27, v2, s2, -v13
	v_mul_f16_e32 v2, 0x34f2, v2
	v_fma_f16 v39, v1, s7, -v2
	v_fma_f16 v1, v29, s2, v7
	v_fma_f16 v2, v31, s7, v54
	v_add_f16_e32 v37, v17, v37
	v_fma_f16 v1, v21, s3, v1
	v_fma_f16 v2, v22, s12, v2
	v_fma_f16 v1, v53, s6, v1
	v_fma_f16 v52, v37, s6, v2
	v_add_f16_e32 v14, v1, v12
	v_sub_f16_e32 v17, v1, v12
	v_sub_f16_e32 v18, v16, v8
	v_add_f16_e32 v15, v16, v8
	v_add_f16_e32 v16, v30, v27
	v_mul_lo_u16_e32 v1, 10, v49
	v_add_f16_e32 v19, v52, v6
	v_add_f16_e32 v34, v3, v4
	;; [unrolled: 1-line block ×3, first 2 shown]
	v_lshlrev_b32_e32 v33, 2, v1
	v_pk_add_f16 v12, v9, v10
	v_pack_b32_f16 v13, v14, v19
	v_pack_b32_f16 v2, v16, v35
	;; [unrolled: 1-line block ×3, first 2 shown]
	s_barrier
	ds_write2_b64 v33, v[12:13], v[1:2] offset1:1
	v_fma_f16 v2, v31, s2, v54
	v_fma_f16 v2, v22, s3, v2
	;; [unrolled: 1-line block ×11, first 2 shown]
	v_mul_f16_e32 v11, 0x3a79, v2
	v_fma_f16 v1, v53, s6, v1
	v_fma_f16 v11, v8, s3, -v11
	v_mul_f16_e32 v8, 0x3a79, v8
	s_load_dwordx2 s[6:7], s[4:5], 0x38
	v_fma_f16 v8, v2, s12, -v8
	v_sub_f16_e32 v36, v52, v6
	v_sub_f16_e32 v38, v3, v4
	v_add_f16_e32 v21, v1, v11
	v_add_f16_e32 v37, v7, v8
	v_sub_f16_e32 v23, v30, v27
	v_sub_f16_e32 v24, v1, v11
	v_pk_add_f16 v27, v9, v10 neg_lo:[0,1] neg_hi:[0,1]
	v_pack_b32_f16 v1, v17, v36
	v_pack_b32_f16 v2, v18, v38
	;; [unrolled: 1-line block ×3, first 2 shown]
	v_sub_f16_e32 v54, v5, v39
	v_sub_f16_e32 v39, v7, v8
	s_movk_i32 s2, 0x8c
	ds_write2_b64 v33, v[26:27], v[1:2] offset0:2 offset1:3
	v_pack_b32_f16 v2, v24, v39
	v_pack_b32_f16 v1, v23, v54
	v_cmp_gt_u16_e32 vcc, s2, v49
	ds_write_b64 v33, v[1:2] offset:32
	s_waitcnt lgkmcnt(0)
	s_barrier
	s_waitcnt lgkmcnt(0)
                                        ; implicit-def: $vgpr25
	s_and_saveexec_b64 s[2:3], vcc
	s_cbranch_execz .LBB0_3
; %bb.2:
	v_add_u32_e32 v1, 0x400, v51
	ds_read2_b32 v[15:16], v1 offset0:24 offset1:164
	v_add_u32_e32 v1, 0x800, v51
	ds_read2_b32 v[21:22], v1 offset0:48 offset1:188
	;; [unrolled: 2-line block ×3, first 2 shown]
	v_add_u32_e32 v0, 0x1500, v51
	ds_read2_b32 v[13:14], v51 offset1:140
	ds_read2_b32 v[17:18], v1 offset0:72 offset1:212
	ds_read2_b32 v[25:26], v0 offset0:56 offset1:196
	ds_read_b32 v55, v51 offset:6720
	s_waitcnt lgkmcnt(6)
	v_lshrrev_b32_e32 v34, 16, v15
	s_waitcnt lgkmcnt(3)
	v_lshrrev_b32_e32 v19, 16, v14
	v_lshrrev_b32_e32 v35, 16, v16
	;; [unrolled: 1-line block ×3, first 2 shown]
	s_waitcnt lgkmcnt(2)
	v_lshrrev_b32_e32 v36, 16, v17
	v_lshrrev_b32_e32 v38, 16, v18
	;; [unrolled: 1-line block ×4, first 2 shown]
	s_waitcnt lgkmcnt(1)
	v_lshrrev_b32_e32 v56, 16, v25
	v_lshrrev_b32_e32 v58, 16, v26
	s_waitcnt lgkmcnt(0)
	v_lshrrev_b32_e32 v57, 16, v55
	v_mov_b32_e32 v12, v13
	v_mov_b32_e32 v27, v22
.LBB0_3:
	s_or_b64 exec, exec, s[2:3]
	s_movk_i32 s2, 0xcd
	v_mul_lo_u16_sdwa v0, v49, s2 dst_sel:DWORD dst_unused:UNUSED_PAD src0_sel:BYTE_0 src1_sel:DWORD
	v_lshrrev_b16_e32 v52, 11, v0
	v_mul_lo_u16_e32 v0, 10, v52
	v_sub_u16_e32 v0, v49, v0
	v_and_b32_e32 v53, 0xff, v0
	v_mul_u32_u24_e32 v0, 12, v53
	v_lshlrev_b32_e32 v13, 2, v0
	global_load_dwordx4 v[0:3], v13, s[14:15]
	global_load_dwordx4 v[4:7], v13, s[14:15] offset:16
	global_load_dwordx4 v[8:11], v13, s[14:15] offset:32
	v_lshrrev_b32_e32 v22, 16, v27
	s_movk_i32 s3, 0x3b15
	s_movk_i32 s2, 0x388b
	s_mov_b32 s4, 0xb5ac
	s_movk_i32 s5, 0x2fb7
	s_mov_b32 s16, 0xbbc4
	s_mov_b32 s12, 0xb9fd
	s_waitcnt vmcnt(0)
	s_barrier
	v_mul_f16_sdwa v13, v19, v0 dst_sel:DWORD dst_unused:UNUSED_PAD src0_sel:DWORD src1_sel:WORD_1
	v_mul_f16_sdwa v59, v14, v0 dst_sel:DWORD dst_unused:UNUSED_PAD src0_sel:DWORD src1_sel:WORD_1
	v_mul_f16_sdwa v77, v57, v11 dst_sel:DWORD dst_unused:UNUSED_PAD src0_sel:DWORD src1_sel:WORD_1
	v_mul_f16_sdwa v30, v34, v1 dst_sel:DWORD dst_unused:UNUSED_PAD src0_sel:DWORD src1_sel:WORD_1
	v_mul_f16_sdwa v60, v15, v1 dst_sel:DWORD dst_unused:UNUSED_PAD src0_sel:DWORD src1_sel:WORD_1
	v_mul_f16_sdwa v32, v37, v3 dst_sel:DWORD dst_unused:UNUSED_PAD src0_sel:DWORD src1_sel:WORD_1
	v_mul_f16_sdwa v63, v22, v4 dst_sel:DWORD dst_unused:UNUSED_PAD src0_sel:DWORD src1_sel:WORD_1
	v_mul_f16_sdwa v64, v27, v4 dst_sel:DWORD dst_unused:UNUSED_PAD src0_sel:DWORD src1_sel:WORD_1
	v_mul_f16_sdwa v70, v23, v7 dst_sel:DWORD dst_unused:UNUSED_PAD src0_sel:DWORD src1_sel:WORD_1
	v_mul_f16_sdwa v72, v24, v8 dst_sel:DWORD dst_unused:UNUSED_PAD src0_sel:DWORD src1_sel:WORD_1
	v_mul_f16_sdwa v73, v56, v9 dst_sel:DWORD dst_unused:UNUSED_PAD src0_sel:DWORD src1_sel:WORD_1
	v_mul_f16_sdwa v75, v58, v10 dst_sel:DWORD dst_unused:UNUSED_PAD src0_sel:DWORD src1_sel:WORD_1
	v_mul_f16_sdwa v78, v55, v11 dst_sel:DWORD dst_unused:UNUSED_PAD src0_sel:DWORD src1_sel:WORD_1
	v_fma_f16 v29, v14, v0, -v13
	v_fma_f16 v55, v55, v11, -v77
	v_mul_f16_sdwa v31, v35, v2 dst_sel:DWORD dst_unused:UNUSED_PAD src0_sel:DWORD src1_sel:WORD_1
	v_mul_f16_sdwa v61, v16, v2 dst_sel:DWORD dst_unused:UNUSED_PAD src0_sel:DWORD src1_sel:WORD_1
	;; [unrolled: 1-line block ×11, first 2 shown]
	v_fma_f16 v30, v15, v1, -v30
	v_fma_f16 v32, v21, v3, -v32
	v_fma_f16 v13, v19, v0, v59
	v_fma_f16 v14, v34, v1, v60
	v_fma_f16 v34, v27, v4, -v63
	v_fma_f16 v19, v22, v4, v64
	v_fma_f16 v21, v54, v7, v70
	v_fma_f16 v22, v39, v8, v72
	v_fma_f16 v39, v25, v9, -v73
	v_fma_f16 v54, v26, v10, -v75
	v_fma_f16 v27, v57, v11, v78
	v_sub_f16_e32 v25, v29, v55
	v_fma_f16 v31, v16, v2, -v31
	v_fma_f16 v15, v35, v2, v61
	v_fma_f16 v16, v37, v3, v62
	v_fma_f16 v35, v17, v5, -v65
	v_fma_f16 v17, v36, v5, v66
	v_fma_f16 v36, v18, v6, -v67
	;; [unrolled: 2-line block ×3, first 2 shown]
	v_fma_f16 v38, v24, v8, -v71
	v_fma_f16 v23, v56, v9, v74
	v_fma_f16 v24, v58, v10, v76
	v_add_f16_e32 v90, v13, v27
	v_sub_f16_e32 v26, v13, v27
	v_sub_f16_e32 v56, v30, v54
	v_mul_f16_e32 v67, 0xb770, v25
	v_add_f16_e32 v89, v29, v55
	v_add_f16_e32 v96, v14, v24
	v_sub_f16_e32 v57, v14, v24
	v_mul_f16_e32 v70, 0xba95, v26
	v_mul_f16_e32 v68, 0xba95, v56
	v_fma_f16 v59, v90, s3, -v67
	v_add_f16_e32 v95, v30, v54
	v_mul_f16_e32 v71, 0xbb7b, v57
	v_fma_f16 v60, v89, s2, v70
	v_fma_f16 v62, v96, s2, -v68
	v_add_f16_sdwa v59, v12, v59 dst_sel:DWORD dst_unused:UNUSED_PAD src0_sel:WORD_1 src1_sel:DWORD
	v_mul_f16_e32 v74, 0xbbf1, v26
	v_mul_f16_e32 v63, 0xb770, v26
	;; [unrolled: 1-line block ×3, first 2 shown]
	v_fma_f16 v64, v95, s4, v71
	v_add_f16_e32 v60, v12, v60
	v_add_f16_e32 v59, v62, v59
	v_fma_f16 v62, v89, s5, v74
	v_mul_f16_e32 v75, 0xb3a8, v57
	v_mul_f16_e32 v65, 0xba95, v57
	;; [unrolled: 1-line block ×3, first 2 shown]
	v_fma_f16 v58, v89, s3, v63
	v_fma_f16 v66, v90, s2, -v72
	v_add_f16_e32 v60, v64, v60
	v_add_f16_e32 v62, v12, v62
	v_fma_f16 v64, v95, s16, v75
	v_mul_f16_e32 v77, 0xbbf1, v25
	v_fma_f16 v61, v95, s2, v65
	v_fma_f16 v69, v96, s4, -v73
	v_add_f16_e32 v58, v12, v58
	v_add_f16_sdwa v66, v12, v66 dst_sel:DWORD dst_unused:UNUSED_PAD src0_sel:WORD_1 src1_sel:DWORD
	v_add_f16_e32 v62, v64, v62
	v_fma_f16 v64, v90, s5, -v77
	v_mul_f16_e32 v78, 0xb3a8, v56
	v_add_f16_e32 v58, v61, v58
	v_add_f16_e32 v61, v69, v66
	v_add_f16_sdwa v64, v12, v64 dst_sel:DWORD dst_unused:UNUSED_PAD src0_sel:WORD_1 src1_sel:DWORD
	v_fma_f16 v66, v96, s16, -v78
	v_mul_f16_e32 v80, 0xbb7b, v26
	v_add_f16_e32 v64, v66, v64
	v_fma_f16 v66, v89, s4, v80
	v_mul_f16_e32 v82, 0x394e, v57
	v_add_f16_e32 v66, v12, v66
	v_fma_f16 v69, v95, s12, v82
	v_mul_f16_e32 v85, 0xbb7b, v25
	v_add_f16_e32 v66, v69, v66
	v_fma_f16 v69, v90, s4, -v85
	v_mul_f16_e32 v86, 0x394e, v56
	v_add_f16_sdwa v69, v12, v69 dst_sel:DWORD dst_unused:UNUSED_PAD src0_sel:WORD_1 src1_sel:DWORD
	v_fma_f16 v76, v96, s12, -v86
	v_mul_f16_e32 v91, 0xb94e, v26
	v_add_f16_e32 v69, v76, v69
	v_fma_f16 v76, v89, s12, v91
	v_mul_f16_e32 v92, 0x3bf1, v57
	v_mul_f16_e32 v108, 0xb3a8, v25
	v_add_f16_e32 v76, v12, v76
	v_fma_f16 v79, v95, s5, v92
	v_mul_f16_e32 v97, 0xb94e, v25
	v_fma_f16 v25, v90, s16, -v108
	v_mul_f16_e32 v111, 0x3770, v56
	v_add_f16_e32 v83, v79, v76
	v_fma_f16 v76, v90, s12, -v97
	v_mul_f16_e32 v98, 0x3bf1, v56
	v_mul_f16_e32 v102, 0xb3a8, v26
	v_add_f16_sdwa v25, v12, v25 dst_sel:DWORD dst_unused:UNUSED_PAD src0_sel:WORD_1 src1_sel:DWORD
	v_fma_f16 v56, v96, s3, -v111
	v_add_f16_sdwa v76, v12, v76 dst_sel:DWORD dst_unused:UNUSED_PAD src0_sel:WORD_1 src1_sel:DWORD
	v_fma_f16 v79, v96, s5, -v98
	v_fma_f16 v26, v89, s16, v102
	v_mul_f16_e32 v103, 0x3770, v57
	v_add_f16_e32 v25, v56, v25
	v_sub_f16_e32 v56, v15, v23
	v_add_f16_e32 v88, v79, v76
	v_add_f16_e32 v26, v12, v26
	v_fma_f16 v57, v95, s3, v103
	v_add_f16_e32 v120, v31, v39
	v_mul_f16_e32 v76, 0xbbf1, v56
	v_add_f16_e32 v26, v57, v26
	v_fma_f16 v57, v120, s5, v76
	v_add_f16_e32 v57, v57, v58
	v_sub_f16_e32 v58, v31, v39
	v_add_f16_e32 v125, v15, v23
	v_mul_f16_e32 v79, 0xbbf1, v58
	v_fma_f16 v81, v125, s5, -v79
	v_add_f16_e32 v59, v81, v59
	v_mul_f16_e32 v81, 0xb3a8, v56
	v_fma_f16 v84, v120, s16, v81
	v_add_f16_e32 v60, v84, v60
	v_mul_f16_e32 v84, 0xb3a8, v58
	v_fma_f16 v87, v125, s16, -v84
	v_add_f16_e32 v61, v87, v61
	v_mul_f16_e32 v87, 0x3b7b, v56
	v_fma_f16 v93, v120, s4, v87
	v_mul_f16_e32 v94, 0x3b7b, v58
	v_add_f16_e32 v62, v93, v62
	v_fma_f16 v93, v125, s4, -v94
	v_mul_f16_e32 v100, 0x3770, v56
	v_add_f16_e32 v64, v93, v64
	v_fma_f16 v93, v120, s3, v100
	v_mul_f16_e32 v106, 0x3770, v58
	v_mul_f16_e32 v118, 0xb94e, v56
	v_add_f16_e32 v66, v93, v66
	v_fma_f16 v93, v125, s3, -v106
	v_mul_f16_e32 v109, 0xba95, v56
	v_fma_f16 v56, v120, s12, v118
	v_mul_f16_e32 v124, 0xb94e, v58
	v_add_f16_e32 v69, v93, v69
	v_fma_f16 v93, v120, s2, v109
	v_mul_f16_e32 v115, 0xba95, v58
	v_add_f16_e32 v26, v56, v26
	v_fma_f16 v56, v125, s12, -v124
	v_add_f16_e32 v99, v93, v83
	v_fma_f16 v83, v125, s2, -v115
	v_add_f16_e32 v25, v56, v25
	v_sub_f16_e32 v56, v16, v22
	v_add_f16_e32 v105, v83, v88
	v_add_f16_e32 v132, v32, v38
	v_mul_f16_e32 v83, 0xbb7b, v56
	v_fma_f16 v58, v132, s4, v83
	v_add_f16_e32 v57, v58, v57
	v_sub_f16_e32 v58, v32, v38
	v_add_f16_e32 v133, v16, v22
	v_mul_f16_e32 v88, 0xbb7b, v58
	v_fma_f16 v93, v133, s4, -v88
	v_add_f16_e32 v59, v93, v59
	v_mul_f16_e32 v93, 0x394e, v56
	v_fma_f16 v101, v132, s12, v93
	v_add_f16_e32 v60, v101, v60
	v_mul_f16_e32 v101, 0x394e, v58
	v_fma_f16 v104, v133, s12, -v101
	v_add_f16_e32 v61, v104, v61
	v_mul_f16_e32 v104, 0x3770, v56
	v_fma_f16 v107, v132, s3, v104
	v_mul_f16_e32 v110, 0x3770, v58
	v_add_f16_e32 v62, v107, v62
	v_fma_f16 v107, v133, s3, -v110
	v_mul_f16_e32 v113, 0xbbf1, v56
	v_add_f16_e32 v64, v107, v64
	v_fma_f16 v107, v132, s5, v113
	v_mul_f16_e32 v119, 0xbbf1, v58
	v_mul_f16_e32 v130, 0x3a95, v56
	v_add_f16_e32 v66, v107, v66
	v_fma_f16 v107, v133, s5, -v119
	v_mul_f16_e32 v122, 0x33a8, v56
	v_fma_f16 v56, v132, s2, v130
	v_mul_f16_e32 v136, 0x3a95, v58
	v_add_f16_e32 v69, v107, v69
	v_fma_f16 v107, v132, s16, v122
	v_mul_f16_e32 v128, 0x33a8, v58
	v_add_f16_e32 v26, v56, v26
	v_fma_f16 v56, v133, s2, -v136
	v_add_f16_e32 v112, v107, v99
	v_fma_f16 v99, v133, s16, -v128
	v_add_f16_e32 v25, v56, v25
	v_sub_f16_e32 v56, v19, v21
	v_add_f16_e32 v117, v99, v105
	v_add_f16_e32 v139, v34, v37
	v_mul_f16_e32 v99, 0xb94e, v56
	;; [unrolled: 40-line block ×3, first 2 shown]
	v_sub_f16_e32 v149, v35, v36
	v_fma_f16 v56, v145, s16, v112
	v_add_f16_e32 v147, v17, v18
	v_mul_f16_e32 v117, 0xb3a8, v149
	v_add_f16_e32 v56, v56, v57
	v_fma_f16 v57, v147, s16, -v117
	v_mul_f16_e32 v121, 0x3770, v25
	v_mul_f16_e32 v127, 0x3770, v149
	v_add_f16_e32 v59, v57, v59
	v_fma_f16 v57, v145, s3, v121
	v_fma_f16 v58, v147, s3, -v127
	v_mul_f16_e32 v129, 0xb94e, v25
	v_mul_f16_e32 v135, 0xb94e, v149
	v_add_f16_e32 v57, v57, v60
	v_add_f16_e32 v61, v58, v61
	v_fma_f16 v58, v145, s12, v129
	v_fma_f16 v60, v147, s12, -v135
	v_mul_f16_e32 v137, 0x3a95, v25
	v_mul_f16_e32 v141, 0x3a95, v149
	v_add_f16_e32 v58, v58, v62
	v_add_f16_e32 v64, v60, v64
	v_fma_f16 v60, v145, s2, v137
	v_fma_f16 v62, v147, s2, -v141
	v_mul_f16_e32 v143, 0xbb7b, v25
	v_add_f16_e32 v60, v60, v66
	v_add_f16_e32 v66, v62, v69
	v_fma_f16 v62, v145, s4, v143
	v_add_f16_e32 v62, v62, v146
	v_mul_f16_e32 v146, 0xbb7b, v149
	v_fma_f16 v69, v147, s4, -v146
	v_add_f16_e32 v69, v69, v148
	v_mul_f16_e32 v148, 0x3bf1, v25
	v_fma_f16 v25, v145, s5, v148
	v_mul_f16_e32 v149, 0x3bf1, v149
	v_add_f16_e32 v25, v25, v26
	v_fma_f16 v26, v147, s5, -v149
	v_add_f16_e32 v26, v26, v150
	s_and_saveexec_b64 s[2:3], vcc
	s_cbranch_execz .LBB0_5
; %bb.4:
	v_mul_f16_e32 v150, 0x3b15, v89
	v_mul_f16_e32 v152, 0x388b, v89
	;; [unrolled: 1-line block ×12, first 2 shown]
	v_sub_f16_e32 v89, v89, v102
	v_mul_f16_e32 v170, 0x2fb7, v120
	v_mul_f16_e32 v172, 0xbbc4, v120
	v_mul_f16_e32 v174, 0xb5ac, v120
	v_mul_f16_e32 v176, 0x3b15, v120
	v_mul_f16_e32 v178, 0x388b, v120
	v_mul_f16_e32 v120, 0xb9fd, v120
	v_add_f16_e32 v89, v12, v89
	v_sub_f16_e32 v95, v95, v103
	v_mul_f16_e32 v180, 0xb5ac, v132
	v_mul_f16_e32 v182, 0xb9fd, v132
	v_mul_f16_e32 v184, 0x3b15, v132
	v_mul_f16_e32 v186, 0x2fb7, v132
	v_mul_f16_e32 v188, 0xbbc4, v132
	v_mul_f16_e32 v132, 0x388b, v132
	v_add_f16_e32 v89, v95, v89
	;; [unrolled: 8-line block ×5, first 2 shown]
	v_sub_f16_e32 v95, v145, v148
	v_add_f16_e32 v90, v108, v90
	v_add_f16_e32 v89, v95, v89
	;; [unrolled: 1-line block ×3, first 2 shown]
	v_sub_f16_e32 v91, v158, v91
	v_add_f16_e32 v85, v85, v157
	v_sub_f16_e32 v80, v156, v80
	v_add_f16_e32 v77, v77, v155
	;; [unrolled: 2-line block ×4, first 2 shown]
	v_sub_f16_e32 v63, v150, v63
	v_add_f16_sdwa v90, v12, v90 dst_sel:DWORD dst_unused:UNUSED_PAD src0_sel:WORD_1 src1_sel:DWORD
	v_add_f16_sdwa v95, v12, v95 dst_sel:DWORD dst_unused:UNUSED_PAD src0_sel:WORD_1 src1_sel:DWORD
	v_add_f16_e32 v91, v12, v91
	v_add_f16_sdwa v85, v12, v85 dst_sel:DWORD dst_unused:UNUSED_PAD src0_sel:WORD_1 src1_sel:DWORD
	v_add_f16_e32 v80, v12, v80
	;; [unrolled: 2-line block ×5, first 2 shown]
	v_add_f16_e32 v29, v12, v29
	v_add_f16_sdwa v12, v12, v13 dst_sel:DWORD dst_unused:UNUSED_PAD src0_sel:WORD_1 src1_sel:DWORD
	v_add_f16_e32 v29, v29, v30
	v_add_f16_e32 v12, v12, v14
	v_mul_f16_e32 v161, 0x388b, v96
	v_mul_f16_e32 v163, 0xb5ac, v96
	;; [unrolled: 1-line block ×6, first 2 shown]
	v_add_f16_e32 v29, v29, v31
	v_add_f16_e32 v12, v12, v15
	v_mul_f16_e32 v171, 0x2fb7, v125
	v_mul_f16_e32 v173, 0xbbc4, v125
	v_mul_f16_e32 v175, 0xb5ac, v125
	v_mul_f16_e32 v177, 0x3b15, v125
	v_mul_f16_e32 v179, 0x388b, v125
	v_mul_f16_e32 v125, 0xb9fd, v125
	v_add_f16_e32 v96, v111, v96
	v_add_f16_e32 v29, v29, v32
	v_add_f16_e32 v12, v12, v16
	v_mul_f16_e32 v181, 0xb5ac, v133
	v_mul_f16_e32 v183, 0xb9fd, v133
	v_mul_f16_e32 v185, 0x3b15, v133
	v_mul_f16_e32 v187, 0x2fb7, v133
	v_mul_f16_e32 v189, 0xbbc4, v133
	v_mul_f16_e32 v133, 0x388b, v133
	v_add_f16_e32 v90, v96, v90
	v_add_f16_e32 v96, v124, v125
	v_add_f16_e32 v29, v29, v34
	v_add_f16_e32 v12, v12, v19
	v_mul_f16_e32 v191, 0xb9fd, v142
	v_mul_f16_e32 v193, 0x2fb7, v142
	v_mul_f16_e32 v195, 0x388b, v142
	v_mul_f16_e32 v197, 0xbbc4, v142
	v_mul_f16_e32 v199, 0x3b15, v142
	v_mul_f16_e32 v142, 0xb5ac, v142
	v_add_f16_e32 v90, v96, v90
	;; [unrolled: 10-line block ×3, first 2 shown]
	v_add_f16_e32 v96, v144, v142
	v_add_f16_e32 v68, v68, v161
	v_sub_f16_e32 v65, v160, v65
	v_add_f16_e32 v29, v29, v36
	v_add_f16_e32 v12, v12, v18
	;; [unrolled: 1-line block ×5, first 2 shown]
	v_sub_f16_e32 v75, v164, v75
	v_add_f16_e32 v73, v73, v163
	v_sub_f16_e32 v71, v162, v71
	v_add_f16_e32 v67, v68, v67
	v_add_f16_e32 v68, v79, v171
	;; [unrolled: 1-line block ×3, first 2 shown]
	v_sub_f16_e32 v65, v170, v76
	v_add_f16_e32 v29, v29, v37
	v_add_f16_e32 v12, v12, v21
	;; [unrolled: 1-line block ×4, first 2 shown]
	v_sub_f16_e32 v92, v168, v92
	v_add_f16_e32 v86, v86, v167
	v_sub_f16_e32 v82, v166, v82
	v_add_f16_e32 v77, v78, v77
	v_add_f16_e32 v78, v94, v175
	v_add_f16_e32 v74, v75, v74
	v_sub_f16_e32 v75, v174, v87
	v_add_f16_e32 v72, v73, v72
	v_add_f16_e32 v73, v84, v173
	v_add_f16_e32 v70, v71, v70
	v_sub_f16_e32 v71, v172, v81
	v_add_f16_e32 v67, v68, v67
	v_add_f16_e32 v68, v88, v181
	v_add_f16_e32 v63, v65, v63
	v_sub_f16_e32 v65, v180, v83
	v_add_f16_e32 v29, v29, v38
	v_add_f16_e32 v12, v12, v22
	v_add_f16_e32 v95, v96, v95
	v_add_f16_e32 v96, v115, v179
	v_add_f16_e32 v91, v92, v91
	v_sub_f16_e32 v92, v178, v109
	v_add_f16_e32 v85, v86, v85
	v_add_f16_e32 v86, v106, v177
	v_add_f16_e32 v80, v82, v80
	v_sub_f16_e32 v82, v176, v100
	v_add_f16_e32 v77, v78, v77
	v_add_f16_e32 v78, v110, v185
	v_add_f16_e32 v74, v75, v74
	v_sub_f16_e32 v75, v184, v104
	v_add_f16_e32 v72, v73, v72
	v_add_f16_e32 v73, v101, v183
	v_add_f16_e32 v70, v71, v70
	v_sub_f16_e32 v71, v182, v93
	v_add_f16_e32 v67, v68, v67
	v_add_f16_e32 v68, v105, v191
	v_add_f16_e32 v63, v65, v63
	v_sub_f16_e32 v65, v190, v99
	v_add_f16_e32 v29, v29, v39
	v_add_f16_e32 v12, v12, v23
	v_add_f16_e32 v95, v96, v95
	v_add_f16_e32 v96, v128, v189
	v_add_f16_e32 v91, v92, v91
	v_sub_f16_e32 v92, v188, v122
	v_add_f16_e32 v85, v86, v85
	v_add_f16_e32 v86, v119, v187
	;; [unrolled: 22-line block ×3, first 2 shown]
	v_add_f16_e32 v80, v82, v80
	v_sub_f16_e32 v82, v196, v126
	v_add_f16_e32 v77, v78, v77
	v_add_f16_e32 v78, v135, v205
	v_add_f16_e32 v74, v75, v74
	v_sub_f16_e32 v75, v204, v129
	v_add_f16_e32 v72, v73, v72
	v_add_f16_e32 v73, v127, v203
	;; [unrolled: 4-line block ×3, first 2 shown]
	v_add_f16_e32 v29, v29, v55
	v_add_f16_e32 v12, v12, v27
	v_mul_u32_u24_e32 v13, 0x82, v52
	v_add_f16_e32 v95, v96, v95
	v_add_f16_e32 v96, v146, v209
	;; [unrolled: 1-line block ×3, first 2 shown]
	v_sub_f16_e32 v92, v208, v143
	v_add_f16_e32 v85, v86, v85
	v_add_f16_e32 v86, v141, v207
	;; [unrolled: 1-line block ×3, first 2 shown]
	v_sub_f16_e32 v82, v206, v137
	v_add_f16_e32 v77, v78, v77
	v_add_f16_e32 v74, v75, v74
	;; [unrolled: 1-line block ×4, first 2 shown]
	v_add_lshl_u32 v13, v13, v53, 2
	v_pack_b32_f16 v12, v29, v12
	v_pack_b32_f16 v14, v63, v67
	v_add_f16_e32 v95, v96, v95
	v_add_f16_e32 v91, v92, v91
	;; [unrolled: 1-line block ×4, first 2 shown]
	ds_write2_b32 v13, v12, v14 offset1:10
	v_pack_b32_f16 v12, v70, v72
	v_pack_b32_f16 v14, v74, v77
	ds_write2_b32 v13, v12, v14 offset0:20 offset1:30
	v_pack_b32_f16 v12, v80, v85
	v_pack_b32_f16 v14, v91, v95
	s_mov_b32 s4, 0x5040100
	ds_write2_b32 v13, v12, v14 offset0:40 offset1:50
	v_pack_b32_f16 v12, v89, v90
	v_perm_b32 v14, v26, v25, s4
	ds_write2_b32 v13, v12, v14 offset0:60 offset1:70
	v_perm_b32 v12, v69, v62, s4
	v_perm_b32 v14, v66, v60, s4
	ds_write2_b32 v13, v12, v14 offset0:80 offset1:90
	v_perm_b32 v12, v64, v58, s4
	;; [unrolled: 3-line block ×3, first 2 shown]
	ds_write_b32 v13, v12 offset:480
.LBB0_5:
	s_or_b64 exec, exec, s[2:3]
	s_waitcnt lgkmcnt(0)
	s_barrier
	ds_read_b32 v27, v51
	ds_read_b32 v37, v51 offset:1040
	ds_read_b32 v36, v51 offset:2080
	;; [unrolled: 1-line block ×6, first 2 shown]
	s_movk_i32 s2, 0x4e
	v_cmp_gt_u16_e64 s[2:3], s2, v49
                                        ; implicit-def: $vgpr29
                                        ; implicit-def: $vgpr30
	s_and_saveexec_b64 s[4:5], s[2:3]
	s_cbranch_execz .LBB0_7
; %bb.6:
	ds_read_b32 v25, v51 offset:728
	ds_read_b32 v62, v51 offset:1768
	;; [unrolled: 1-line block ×7, first 2 shown]
	s_waitcnt lgkmcnt(6)
	v_lshrrev_b32_e32 v26, 16, v25
	s_waitcnt lgkmcnt(5)
	v_lshrrev_b32_e32 v69, 16, v62
	;; [unrolled: 2-line block ×7, first 2 shown]
.LBB0_7:
	s_or_b64 exec, exec, s[4:5]
	s_movk_i32 s4, 0x82
	v_add_u32_e32 v12, 0xffffff7e, v49
	v_cmp_gt_u16_e64 s[4:5], s4, v49
	v_cndmask_b32_e64 v54, v12, v49, s[4:5]
	v_mul_i32_i24_e32 v12, 24, v54
	v_mul_hi_i32_i24_e32 v13, 24, v54
	v_mov_b32_e32 v14, s15
	v_add_co_u32_e64 v12, s[4:5], s14, v12
	v_addc_co_u32_e64 v13, s[4:5], v14, v13, s[4:5]
	global_load_dwordx4 v[16:19], v[12:13], off offset:480
	global_load_dwordx2 v[23:24], v[12:13], off offset:496
	v_add_u32_e32 v12, 0xb6, v49
	s_movk_i32 s4, 0xfc1
	v_mul_u32_u24_sdwa v13, v12, s4 dst_sel:DWORD dst_unused:UNUSED_PAD src0_sel:WORD_0 src1_sel:DWORD
	v_lshrrev_b32_e32 v13, 19, v13
	v_mul_lo_u16_e32 v13, 0x82, v13
	v_sub_u16_e32 v55, v12, v13
	v_mul_lo_u16_e32 v12, 24, v55
	v_add_co_u32_e64 v38, s[4:5], s14, v12
	v_addc_co_u32_e64 v39, s[4:5], 0, v14, s[4:5]
	global_load_dwordx4 v[12:15], v[38:39], off offset:480
	global_load_dwordx2 v[21:22], v[38:39], off offset:496
	s_waitcnt lgkmcnt(5)
	v_lshrrev_b32_e32 v38, 16, v37
	s_waitcnt lgkmcnt(4)
	v_lshrrev_b32_e32 v39, 16, v36
	;; [unrolled: 2-line block ×4, first 2 shown]
	v_lshrrev_b32_e32 v63, 16, v35
	v_lshrrev_b32_e32 v65, 16, v34
	s_movk_i32 s4, 0x2b26
	s_movk_i32 s5, 0x3b00
	s_mov_b32 s12, 0xbcab
	s_movk_i32 s16, 0x39e0
	s_mov_b32 s17, 0xb9e0
	;; [unrolled: 2-line block ×3, first 2 shown]
	s_movk_i32 s20, 0x370e
	s_waitcnt vmcnt(0)
	s_barrier
	v_mul_f16_sdwa v70, v38, v16 dst_sel:DWORD dst_unused:UNUSED_PAD src0_sel:DWORD src1_sel:WORD_1
	v_mul_f16_sdwa v71, v37, v16 dst_sel:DWORD dst_unused:UNUSED_PAD src0_sel:DWORD src1_sel:WORD_1
	;; [unrolled: 1-line block ×12, first 2 shown]
	v_fma_f16 v37, v37, v16, -v70
	v_fma_f16 v38, v38, v16, v71
	v_fma_f16 v36, v36, v17, -v72
	v_fma_f16 v39, v39, v17, v73
	;; [unrolled: 2-line block ×6, first 2 shown]
	v_add_f16_e32 v70, v37, v31
	v_add_f16_e32 v71, v38, v68
	v_sub_f16_e32 v31, v37, v31
	v_sub_f16_e32 v37, v38, v68
	v_add_f16_e32 v38, v36, v32
	v_add_f16_e32 v68, v39, v67
	v_sub_f16_e32 v32, v36, v32
	v_sub_f16_e32 v36, v39, v67
	v_mul_f16_sdwa v67, v69, v12 dst_sel:DWORD dst_unused:UNUSED_PAD src0_sel:DWORD src1_sel:WORD_1
	v_mul_f16_sdwa v72, v62, v12 dst_sel:DWORD dst_unused:UNUSED_PAD src0_sel:DWORD src1_sel:WORD_1
	v_add_f16_e32 v39, v35, v34
	v_mul_f16_sdwa v73, v66, v13 dst_sel:DWORD dst_unused:UNUSED_PAD src0_sel:DWORD src1_sel:WORD_1
	v_mul_f16_sdwa v74, v60, v13 dst_sel:DWORD dst_unused:UNUSED_PAD src0_sel:DWORD src1_sel:WORD_1
	;; [unrolled: 1-line block ×5, first 2 shown]
	v_fma_f16 v62, v62, v12, -v67
	v_fma_f16 v67, v69, v12, v72
	v_add_f16_e32 v69, v63, v65
	v_sub_f16_e32 v34, v34, v35
	v_sub_f16_e32 v35, v65, v63
	v_add_f16_e32 v63, v38, v70
	v_add_f16_e32 v65, v68, v71
	v_mul_f16_sdwa v78, v57, v15 dst_sel:DWORD dst_unused:UNUSED_PAD src0_sel:DWORD src1_sel:WORD_1
	v_fma_f16 v60, v60, v13, -v73
	v_fma_f16 v66, v66, v13, v74
	v_fma_f16 v58, v58, v14, -v75
	v_fma_f16 v64, v64, v14, v76
	v_fma_f16 v57, v57, v15, -v77
	v_sub_f16_e32 v72, v38, v70
	v_sub_f16_e32 v73, v68, v71
	;; [unrolled: 1-line block ×6, first 2 shown]
	v_add_f16_e32 v74, v34, v32
	v_add_f16_e32 v75, v35, v36
	v_sub_f16_e32 v76, v34, v32
	v_sub_f16_e32 v77, v35, v36
	;; [unrolled: 1-line block ×4, first 2 shown]
	v_add_f16_e32 v39, v39, v63
	v_add_f16_e32 v63, v69, v65
	v_fma_f16 v61, v61, v15, v78
	v_sub_f16_e32 v34, v31, v34
	v_sub_f16_e32 v35, v37, v35
	v_add_f16_e32 v31, v74, v31
	v_add_f16_e32 v37, v75, v37
	;; [unrolled: 1-line block ×3, first 2 shown]
	v_add_f16_sdwa v74, v27, v63 dst_sel:DWORD dst_unused:UNUSED_PAD src0_sel:WORD_1 src1_sel:DWORD
	v_mul_f16_e32 v27, 0x3a52, v70
	v_mul_f16_e32 v65, 0x3a52, v71
	;; [unrolled: 1-line block ×8, first 2 shown]
	v_mul_f16_sdwa v79, v59, v21 dst_sel:DWORD dst_unused:UNUSED_PAD src0_sel:DWORD src1_sel:WORD_1
	v_mul_f16_sdwa v80, v56, v21 dst_sel:DWORD dst_unused:UNUSED_PAD src0_sel:DWORD src1_sel:WORD_1
	;; [unrolled: 1-line block ×4, first 2 shown]
	v_fma_f16 v39, v39, s12, v69
	v_fma_f16 v63, v63, s12, v74
	;; [unrolled: 1-line block ×4, first 2 shown]
	v_fma_f16 v70, v72, s16, -v70
	v_fma_f16 v71, v73, s16, -v71
	;; [unrolled: 1-line block ×4, first 2 shown]
	v_fma_f16 v72, v34, s18, v75
	v_fma_f16 v73, v35, s18, v76
	v_fma_f16 v32, v32, s5, -v75
	v_fma_f16 v34, v34, s19, -v77
	v_fma_f16 v35, v35, s19, -v78
	v_fma_f16 v56, v56, v21, -v79
	v_fma_f16 v59, v59, v21, v80
	v_fma_f16 v29, v29, v22, -v81
	v_fma_f16 v30, v30, v22, v82
	v_fma_f16 v36, v36, s5, -v76
	v_add_f16_e32 v38, v38, v39
	v_add_f16_e32 v68, v68, v63
	;; [unrolled: 1-line block ×6, first 2 shown]
	v_fma_f16 v63, v31, s20, v72
	v_fma_f16 v32, v31, s20, v32
	;; [unrolled: 1-line block ×6, first 2 shown]
	v_add_f16_e32 v75, v34, v27
	v_sub_f16_e32 v76, v39, v31
	v_add_f16_e32 v78, v32, v71
	v_sub_f16_e32 v71, v71, v32
	v_sub_f16_e32 v79, v27, v34
	v_add_f16_e32 v39, v31, v39
	v_add_f16_e32 v27, v62, v29
	;; [unrolled: 1-line block ×6, first 2 shown]
	v_sub_f16_e32 v77, v70, v36
	v_add_f16_e32 v70, v36, v70
	v_sub_f16_e32 v80, v38, v65
	v_sub_f16_e32 v29, v62, v29
	v_sub_f16_e32 v35, v60, v56
	v_sub_f16_e32 v36, v66, v59
	v_add_f16_e32 v37, v58, v57
	v_add_f16_e32 v38, v64, v61
	v_sub_f16_e32 v56, v57, v58
	v_sub_f16_e32 v57, v61, v64
	v_add_f16_e32 v58, v32, v27
	v_add_f16_e32 v59, v34, v31
	v_sub_f16_e32 v73, v68, v63
	v_add_f16_e32 v68, v63, v68
	v_sub_f16_e32 v30, v67, v30
	v_sub_f16_e32 v60, v32, v27
	;; [unrolled: 1-line block ×7, first 2 shown]
	v_add_f16_e32 v27, v56, v35
	v_add_f16_e32 v63, v57, v36
	v_sub_f16_e32 v64, v56, v35
	v_sub_f16_e32 v35, v35, v29
	v_add_f16_e32 v37, v37, v58
	v_add_f16_e32 v38, v38, v59
	v_sub_f16_e32 v65, v57, v36
	v_sub_f16_e32 v56, v29, v56
	;; [unrolled: 1-line block ×4, first 2 shown]
	v_add_f16_e32 v58, v27, v29
	v_add_f16_e32 v59, v63, v30
	;; [unrolled: 1-line block ×4, first 2 shown]
	v_mul_f16_e32 v25, 0x3a52, v62
	v_mul_f16_e32 v26, 0x3a52, v31
	;; [unrolled: 1-line block ×7, first 2 shown]
	v_fma_f16 v37, v37, s12, v27
	v_fma_f16 v32, v32, s4, v25
	;; [unrolled: 1-line block ×3, first 2 shown]
	v_fma_f16 v66, v60, s16, -v30
	v_fma_f16 v25, v60, s17, -v25
	v_fma_f16 v60, v56, s18, v62
	v_fma_f16 v56, v56, s19, -v64
	s_movk_i32 s4, 0x81
	v_fma_f16 v67, v61, s16, -v31
	v_fma_f16 v26, v61, s17, -v26
	v_fma_f16 v61, v57, s18, v63
	v_fma_f16 v62, v35, s5, -v62
	v_fma_f16 v63, v36, s5, -v63
	v_add_f16_e32 v30, v32, v37
	v_add_f16_e32 v64, v66, v37
	;; [unrolled: 1-line block ×3, first 2 shown]
	v_fma_f16 v37, v58, s20, v56
	v_mov_b32_e32 v56, 0x38e
	v_cmp_lt_u16_e64 s[4:5], s4, v49
	v_mul_f16_e32 v65, 0x3b00, v36
	v_fma_f16 v38, v38, s12, v29
	v_cndmask_b32_e64 v56, 0, v56, s[4:5]
	v_fma_f16 v57, v57, s19, -v65
	v_add_f16_e32 v31, v34, v38
	v_fma_f16 v34, v58, s20, v60
	v_fma_f16 v60, v58, s20, v62
	v_add_lshl_u32 v62, v54, v56, 2
	v_pack_b32_f16 v54, v69, v74
	v_pack_b32_f16 v56, v72, v73
	v_add_f16_e32 v65, v67, v38
	v_add_f16_e32 v36, v26, v38
	v_fma_f16 v38, v59, s20, v57
	ds_write2_b32 v62, v54, v56 offset1:130
	v_pack_b32_f16 v54, v75, v76
	v_pack_b32_f16 v56, v77, v78
	v_add_u32_e32 v57, 0x400, v62
	v_fma_f16 v35, v59, s20, v61
	v_fma_f16 v26, v59, s20, v63
	ds_write2_b32 v57, v54, v56 offset0:4 offset1:134
	v_pack_b32_f16 v54, v70, v71
	v_pack_b32_f16 v39, v79, v39
	v_add_u32_e32 v56, 0x800, v62
	v_sub_f16_e32 v25, v64, v26
	v_add_f16_e32 v66, v60, v65
	v_add_f16_e32 v26, v26, v64
	v_sub_f16_e32 v65, v65, v60
	v_sub_f16_e32 v63, v32, v38
	v_add_f16_e32 v64, v37, v36
	v_sub_f16_e32 v60, v30, v35
	v_add_f16_e32 v61, v34, v31
	ds_write2_b32 v56, v54, v39 offset0:8 offset1:138
	v_pack_b32_f16 v39, v80, v68
	v_lshlrev_b32_e32 v54, 2, v55
	ds_write_b32 v62, v39 offset:3120
	s_and_saveexec_b64 s[4:5], s[2:3]
	s_cbranch_execz .LBB0_9
; %bb.8:
	v_sub_f16_e32 v31, v31, v34
	v_add_f16_e32 v30, v35, v30
	s_mov_b32 s12, 0x5040100
	v_sub_f16_e32 v36, v36, v37
	v_add_f16_e32 v32, v38, v32
	v_perm_b32 v27, v29, v27, s12
	v_pack_b32_f16 v29, v30, v31
	v_add_u32_e32 v30, 0xe00, v54
	ds_write2_b32 v30, v27, v29 offset0:14 offset1:144
	v_pack_b32_f16 v27, v32, v36
	v_perm_b32 v29, v66, v25, s12
	v_add_u32_e32 v30, 0x1200, v54
	ds_write2_b32 v30, v27, v29 offset0:18 offset1:148
	v_perm_b32 v27, v65, v26, s12
	v_perm_b32 v29, v64, v63, s12
	v_add_u32_e32 v30, 0x1600, v54
	ds_write2_b32 v30, v27, v29 offset0:22 offset1:152
	v_perm_b32 v27, v61, v60, s12
	ds_write_b32 v54, v27 offset:6760
.LBB0_9:
	s_or_b64 exec, exec, s[4:5]
	v_mov_b32_e32 v27, s15
	v_add_co_u32_e64 v29, s[4:5], s14, v51
	s_waitcnt lgkmcnt(0)
	s_barrier
	s_movk_i32 s12, 0x1000
	global_load_dword v55, v51, s[14:15] offset:3600
	v_addc_co_u32_e64 v27, s[4:5], 0, v27, s[4:5]
	v_add_co_u32_e64 v29, s[4:5], s12, v29
	v_addc_co_u32_e64 v30, s[4:5], 0, v27, s[4:5]
	global_load_dword v56, v[29:30], off offset:232
	global_load_dword v57, v[29:30], off offset:960
	;; [unrolled: 1-line block ×4, first 2 shown]
	ds_read2_b32 v[29:30], v51 offset1:182
	v_add_u32_e32 v68, 0xb00, v51
	v_add_u32_e32 v67, 0x1000, v51
	;; [unrolled: 1-line block ×4, first 2 shown]
	ds_read2_b32 v[31:32], v68 offset0:24 offset1:206
	ds_read2_b32 v[34:35], v67 offset0:68 offset1:250
	;; [unrolled: 1-line block ×4, first 2 shown]
	v_mov_b32_e32 v27, s13
	s_waitcnt lgkmcnt(3)
	v_lshrrev_b32_e32 v73, 16, v32
	v_addc_co_u32_e64 v71, s[0:1], 0, v27, s[0:1]
	v_lshrrev_b32_e32 v27, 16, v29
	s_waitcnt lgkmcnt(2)
	v_lshrrev_b32_e32 v74, 16, v34
	v_lshrrev_b32_e32 v76, 16, v35
	s_waitcnt lgkmcnt(0)
	v_lshrrev_b32_e32 v78, 16, v38
	v_lshrrev_b32_e32 v80, 16, v39
	;; [unrolled: 1-line block ×6, first 2 shown]
	s_movk_i32 s4, 0x1c70
	s_movk_i32 s5, 0x3b9c
	s_waitcnt vmcnt(4)
	v_mul_f16_sdwa v81, v73, v55 dst_sel:DWORD dst_unused:UNUSED_PAD src0_sel:DWORD src1_sel:WORD_1
	v_mul_f16_sdwa v82, v32, v55 dst_sel:DWORD dst_unused:UNUSED_PAD src0_sel:DWORD src1_sel:WORD_1
	v_fma_f16 v32, v32, v55, -v81
	v_fma_f16 v73, v73, v55, v82
	v_sub_f16_e32 v32, v29, v32
	v_sub_f16_e32 v73, v27, v73
	s_waitcnt vmcnt(3)
	v_mul_f16_sdwa v81, v74, v56 dst_sel:DWORD dst_unused:UNUSED_PAD src0_sel:DWORD src1_sel:WORD_1
	v_mul_f16_sdwa v82, v34, v56 dst_sel:DWORD dst_unused:UNUSED_PAD src0_sel:DWORD src1_sel:WORD_1
	s_waitcnt vmcnt(2)
	v_mul_f16_sdwa v83, v76, v57 dst_sel:DWORD dst_unused:UNUSED_PAD src0_sel:DWORD src1_sel:WORD_1
	v_mul_f16_sdwa v84, v35, v57 dst_sel:DWORD dst_unused:UNUSED_PAD src0_sel:DWORD src1_sel:WORD_1
	;; [unrolled: 3-line block ×4, first 2 shown]
	v_fma_f16 v29, v29, 2.0, -v32
	v_fma_f16 v27, v27, 2.0, -v73
	v_pack_b32_f16 v32, v32, v73
	v_fma_f16 v34, v34, v56, -v81
	v_fma_f16 v73, v74, v56, v82
	v_fma_f16 v35, v35, v57, -v83
	v_fma_f16 v74, v76, v57, v84
	;; [unrolled: 2-line block ×4, first 2 shown]
	v_pack_b32_f16 v27, v29, v27
	ds_write_b32 v51, v32 offset:3640
	v_sub_f16_e32 v29, v30, v34
	v_sub_f16_e32 v32, v72, v73
	;; [unrolled: 1-line block ×8, first 2 shown]
	v_fma_f16 v30, v30, 2.0, -v29
	v_fma_f16 v72, v72, 2.0, -v32
	;; [unrolled: 1-line block ×8, first 2 shown]
	v_pack_b32_f16 v29, v29, v32
	v_pack_b32_f16 v30, v30, v72
	;; [unrolled: 1-line block ×4, first 2 shown]
	ds_write2_b32 v51, v27, v30 offset1:182
	ds_write2_b32 v67, v29, v32 offset0:68 offset1:250
	v_pack_b32_f16 v27, v37, v76
	v_pack_b32_f16 v29, v31, v77
	ds_write2_b32 v69, v34, v27 offset0:44 offset1:226
	v_pack_b32_f16 v27, v38, v73
	ds_write_b32 v51, v29 offset:2912
	v_pack_b32_f16 v29, v39, v74
	ds_write2_b32 v70, v27, v29 offset0:48 offset1:230
	v_add_co_u32_e64 v29, s[0:1], s12, v28
	v_addc_co_u32_e64 v30, s[0:1], 0, v71, s[0:1]
	s_waitcnt lgkmcnt(0)
	s_barrier
	global_load_dword v34, v[29:30], off offset:3184
	v_add_co_u32_e64 v29, s[0:1], s4, v28
	v_addc_co_u32_e64 v30, s[0:1], 0, v71, s[0:1]
	global_load_dword v35, v[29:30], off offset:728
	global_load_dword v36, v[29:30], off offset:1456
	;; [unrolled: 1-line block ×4, first 2 shown]
	s_movk_i32 s0, 0x2000
	v_add_co_u32_e64 v31, s[0:1], s0, v28
	v_addc_co_u32_e64 v32, s[0:1], 0, v71, s[0:1]
	s_movk_i32 s0, 0x3000
	v_add_co_u32_e64 v27, s[0:1], s0, v28
	v_addc_co_u32_e64 v28, s[0:1], 0, v71, s[0:1]
	global_load_dword v39, v[31:32], off offset:3456
	global_load_dword v71, v[27:28], off offset:88
	;; [unrolled: 1-line block ×5, first 2 shown]
	ds_read2_b32 v[27:28], v51 offset1:182
	s_mov_b32 s0, 0xbb9c
	s_mov_b32 s1, 0xb8b4
	s_movk_i32 s4, 0x34f2
	s_movk_i32 s12, 0x38b4
	s_waitcnt lgkmcnt(0)
	v_lshrrev_b32_e32 v29, 16, v27
	v_lshrrev_b32_e32 v30, 16, v28
	s_waitcnt vmcnt(9)
	v_mul_f16_sdwa v31, v29, v34 dst_sel:DWORD dst_unused:UNUSED_PAD src0_sel:DWORD src1_sel:WORD_1
	v_mul_f16_sdwa v32, v27, v34 dst_sel:DWORD dst_unused:UNUSED_PAD src0_sel:DWORD src1_sel:WORD_1
	s_waitcnt vmcnt(8)
	v_mul_f16_sdwa v75, v30, v35 dst_sel:DWORD dst_unused:UNUSED_PAD src0_sel:DWORD src1_sel:WORD_1
	v_mul_f16_sdwa v76, v28, v35 dst_sel:DWORD dst_unused:UNUSED_PAD src0_sel:DWORD src1_sel:WORD_1
	v_fma_f16 v27, v27, v34, -v31
	v_fma_f16 v29, v29, v34, v32
	v_fma_f16 v28, v28, v35, -v75
	v_fma_f16 v30, v30, v35, v76
	v_pack_b32_f16 v27, v27, v29
	v_pack_b32_f16 v28, v28, v30
	ds_write2_b32 v51, v27, v28 offset1:182
	ds_read2_b32 v[27:28], v69 offset0:44 offset1:226
	ds_read2_b32 v[29:30], v68 offset0:24 offset1:206
	;; [unrolled: 1-line block ×4, first 2 shown]
	s_waitcnt lgkmcnt(3)
	v_lshrrev_b32_e32 v75, 16, v27
	s_waitcnt vmcnt(7)
	v_mul_f16_sdwa v76, v27, v36 dst_sel:DWORD dst_unused:UNUSED_PAD src0_sel:DWORD src1_sel:WORD_1
	v_lshrrev_b32_e32 v77, 16, v28
	s_waitcnt vmcnt(6)
	v_mul_f16_sdwa v78, v28, v37 dst_sel:DWORD dst_unused:UNUSED_PAD src0_sel:DWORD src1_sel:WORD_1
	s_waitcnt lgkmcnt(2)
	v_lshrrev_b32_e32 v79, 16, v29
	s_waitcnt vmcnt(5)
	v_mul_f16_sdwa v80, v29, v38 dst_sel:DWORD dst_unused:UNUSED_PAD src0_sel:DWORD src1_sel:WORD_1
	v_lshrrev_b32_e32 v81, 16, v30
	v_mul_f16_sdwa v87, v75, v36 dst_sel:DWORD dst_unused:UNUSED_PAD src0_sel:DWORD src1_sel:WORD_1
	v_fma_f16 v75, v75, v36, v76
	v_mul_f16_sdwa v76, v77, v37 dst_sel:DWORD dst_unused:UNUSED_PAD src0_sel:DWORD src1_sel:WORD_1
	s_waitcnt vmcnt(2)
	v_mul_f16_sdwa v82, v30, v72 dst_sel:DWORD dst_unused:UNUSED_PAD src0_sel:DWORD src1_sel:WORD_1
	s_waitcnt lgkmcnt(1)
	v_lshrrev_b32_e32 v83, 16, v31
	v_mul_f16_sdwa v84, v31, v39 dst_sel:DWORD dst_unused:UNUSED_PAD src0_sel:DWORD src1_sel:WORD_1
	v_lshrrev_b32_e32 v85, 16, v32
	v_fma_f16 v77, v77, v37, v78
	v_mul_f16_sdwa v78, v79, v38 dst_sel:DWORD dst_unused:UNUSED_PAD src0_sel:DWORD src1_sel:WORD_1
	v_fma_f16 v79, v79, v38, v80
	v_mul_f16_sdwa v80, v81, v72 dst_sel:DWORD dst_unused:UNUSED_PAD src0_sel:DWORD src1_sel:WORD_1
	v_fma_f16 v27, v27, v36, -v87
	v_fma_f16 v28, v28, v37, -v76
	v_mul_f16_sdwa v86, v32, v71 dst_sel:DWORD dst_unused:UNUSED_PAD src0_sel:DWORD src1_sel:WORD_1
	v_fma_f16 v81, v81, v72, v82
	v_mul_f16_sdwa v82, v83, v39 dst_sel:DWORD dst_unused:UNUSED_PAD src0_sel:DWORD src1_sel:WORD_1
	v_fma_f16 v83, v83, v39, v84
	v_mul_f16_sdwa v84, v85, v71 dst_sel:DWORD dst_unused:UNUSED_PAD src0_sel:DWORD src1_sel:WORD_1
	v_fma_f16 v29, v29, v38, -v78
	v_fma_f16 v30, v30, v72, -v80
	v_pack_b32_f16 v27, v27, v75
	v_pack_b32_f16 v28, v28, v77
	v_fma_f16 v31, v31, v39, -v82
	v_fma_f16 v32, v32, v71, -v84
	v_pack_b32_f16 v29, v29, v79
	v_pack_b32_f16 v30, v30, v81
	ds_write2_b32 v69, v27, v28 offset0:44 offset1:226
	ds_write2_b32 v68, v29, v30 offset0:24 offset1:206
	v_fma_f16 v27, v85, v71, v86
	v_pack_b32_f16 v31, v31, v83
	v_pack_b32_f16 v27, v32, v27
	ds_write2_b32 v67, v31, v27 offset0:68 offset1:250
	s_waitcnt lgkmcnt(3)
	v_lshrrev_b32_e32 v27, 16, v34
	s_waitcnt vmcnt(1)
	v_mul_f16_sdwa v28, v27, v73 dst_sel:DWORD dst_unused:UNUSED_PAD src0_sel:DWORD src1_sel:WORD_1
	v_mul_f16_sdwa v29, v34, v73 dst_sel:DWORD dst_unused:UNUSED_PAD src0_sel:DWORD src1_sel:WORD_1
	v_fma_f16 v28, v34, v73, -v28
	v_fma_f16 v27, v27, v73, v29
	v_pack_b32_f16 v27, v28, v27
	v_lshrrev_b32_e32 v28, 16, v35
	s_waitcnt vmcnt(0)
	v_mul_f16_sdwa v29, v28, v74 dst_sel:DWORD dst_unused:UNUSED_PAD src0_sel:DWORD src1_sel:WORD_1
	v_mul_f16_sdwa v30, v35, v74 dst_sel:DWORD dst_unused:UNUSED_PAD src0_sel:DWORD src1_sel:WORD_1
	v_fma_f16 v29, v35, v74, -v29
	v_fma_f16 v28, v28, v74, v30
	v_pack_b32_f16 v28, v29, v28
	ds_write2_b32 v70, v27, v28 offset0:48 offset1:230
	s_waitcnt lgkmcnt(0)
	s_barrier
	ds_read2_b32 v[27:28], v51 offset1:182
	ds_read2_b32 v[29:30], v68 offset0:24 offset1:206
	ds_read2_b32 v[31:32], v67 offset0:68 offset1:250
	;; [unrolled: 1-line block ×4, first 2 shown]
	s_waitcnt lgkmcnt(0)
	s_barrier
	v_add_f16_e32 v38, v29, v31
	v_fma_f16 v38, v38, -0.5, v27
	v_sub_f16_sdwa v39, v34, v36 dst_sel:DWORD dst_unused:UNUSED_PAD src0_sel:WORD_1 src1_sel:WORD_1
	v_fma_f16 v68, v39, s0, v38
	v_sub_f16_sdwa v69, v29, v31 dst_sel:DWORD dst_unused:UNUSED_PAD src0_sel:WORD_1 src1_sel:WORD_1
	v_sub_f16_e32 v70, v36, v31
	v_sub_f16_e32 v71, v34, v29
	v_fma_f16 v68, v69, s1, v68
	v_add_f16_e32 v70, v71, v70
	v_fma_f16 v73, v70, s4, v68
	v_fma_f16 v38, v39, s5, v38
	v_add_f16_e32 v68, v34, v36
	v_fma_f16 v38, v69, s12, v38
	v_fma_f16 v68, v68, -0.5, v27
	v_fma_f16 v38, v70, s4, v38
	v_fma_f16 v70, v69, s5, v68
	;; [unrolled: 1-line block ×5, first 2 shown]
	v_pk_add_f16 v68, v27, v34
	v_pk_add_f16 v68, v68, v29
	;; [unrolled: 1-line block ×3, first 2 shown]
	v_sub_f16_e32 v71, v31, v36
	v_sub_f16_e32 v72, v29, v34
	v_pk_add_f16 v74, v68, v36
	v_add_f16_sdwa v68, v29, v31 dst_sel:DWORD dst_unused:UNUSED_PAD src0_sel:WORD_1 src1_sel:WORD_1
	v_lshrrev_b32_e32 v27, 16, v27
	v_add_f16_e32 v71, v72, v71
	v_fma_f16 v68, v68, -0.5, v27
	v_sub_f16_e32 v69, v34, v36
	v_fma_f16 v70, v71, s4, v70
	v_fma_f16 v39, v71, s4, v39
	;; [unrolled: 1-line block ×3, first 2 shown]
	v_sub_f16_e32 v72, v29, v31
	v_sub_f16_sdwa v75, v34, v29 dst_sel:DWORD dst_unused:UNUSED_PAD src0_sel:WORD_1 src1_sel:WORD_1
	v_sub_f16_sdwa v76, v36, v31 dst_sel:DWORD dst_unused:UNUSED_PAD src0_sel:WORD_1 src1_sel:WORD_1
	v_fma_f16 v68, v69, s0, v68
	v_add_f16_e32 v75, v75, v76
	v_fma_f16 v68, v72, s1, v68
	v_fma_f16 v77, v75, s4, v68
	v_add_f16_sdwa v68, v34, v36 dst_sel:DWORD dst_unused:UNUSED_PAD src0_sel:WORD_1 src1_sel:WORD_1
	v_fma_f16 v27, v68, -0.5, v27
	v_fma_f16 v68, v72, s0, v27
	v_sub_f16_sdwa v29, v29, v34 dst_sel:DWORD dst_unused:UNUSED_PAD src0_sel:WORD_1 src1_sel:WORD_1
	v_sub_f16_sdwa v31, v31, v36 dst_sel:DWORD dst_unused:UNUSED_PAD src0_sel:WORD_1 src1_sel:WORD_1
	v_fma_f16 v27, v72, s5, v27
	v_add_f16_e32 v29, v29, v31
	v_fma_f16 v27, v69, s1, v27
	v_fma_f16 v71, v72, s12, v71
	;; [unrolled: 1-line block ×4, first 2 shown]
	v_add_f16_e32 v27, v30, v32
	v_fma_f16 v76, v75, s4, v71
	v_fma_f16 v75, v29, s4, v68
	v_fma_f16 v27, v27, -0.5, v28
	v_sub_f16_sdwa v29, v35, v37 dst_sel:DWORD dst_unused:UNUSED_PAD src0_sel:WORD_1 src1_sel:WORD_1
	v_fma_f16 v31, v29, s0, v27
	v_sub_f16_sdwa v34, v30, v32 dst_sel:DWORD dst_unused:UNUSED_PAD src0_sel:WORD_1 src1_sel:WORD_1
	v_sub_f16_e32 v36, v37, v32
	v_sub_f16_e32 v68, v35, v30
	v_fma_f16 v27, v29, s5, v27
	v_fma_f16 v31, v34, s1, v31
	v_add_f16_e32 v36, v68, v36
	v_fma_f16 v27, v34, s12, v27
	v_fma_f16 v68, v36, s4, v31
	;; [unrolled: 1-line block ×3, first 2 shown]
	v_add_f16_e32 v27, v35, v37
	v_fma_f16 v27, v27, -0.5, v28
	v_fma_f16 v31, v34, s5, v27
	v_sub_f16_e32 v69, v32, v37
	v_sub_f16_e32 v71, v30, v35
	v_fma_f16 v27, v34, s0, v27
	v_add_f16_e32 v69, v71, v69
	v_fma_f16 v27, v29, s12, v27
	v_fma_f16 v34, v69, s4, v27
	v_pk_add_f16 v27, v28, v35
	v_pk_add_f16 v27, v27, v30
	;; [unrolled: 1-line block ×4, first 2 shown]
	v_add_f16_sdwa v27, v30, v32 dst_sel:DWORD dst_unused:UNUSED_PAD src0_sel:WORD_1 src1_sel:WORD_1
	v_lshrrev_b32_e32 v28, 16, v28
	v_fma_f16 v31, v29, s1, v31
	v_fma_f16 v27, v27, -0.5, v28
	v_sub_f16_e32 v29, v35, v37
	v_fma_f16 v71, v69, s4, v31
	v_fma_f16 v31, v29, s5, v27
	v_sub_f16_e32 v69, v30, v32
	v_sub_f16_sdwa v72, v35, v30 dst_sel:DWORD dst_unused:UNUSED_PAD src0_sel:WORD_1 src1_sel:WORD_1
	v_sub_f16_sdwa v80, v37, v32 dst_sel:DWORD dst_unused:UNUSED_PAD src0_sel:WORD_1 src1_sel:WORD_1
	v_fma_f16 v27, v29, s0, v27
	v_add_f16_e32 v72, v72, v80
	v_fma_f16 v27, v69, s1, v27
	v_fma_f16 v81, v72, s4, v27
	v_add_f16_sdwa v27, v35, v37 dst_sel:DWORD dst_unused:UNUSED_PAD src0_sel:WORD_1 src1_sel:WORD_1
	v_fma_f16 v31, v69, s12, v31
	v_fma_f16 v27, v27, -0.5, v28
	v_fma_f16 v80, v72, s4, v31
	v_fma_f16 v28, v69, s0, v27
	v_sub_f16_sdwa v30, v30, v35 dst_sel:DWORD dst_unused:UNUSED_PAD src0_sel:WORD_1 src1_sel:WORD_1
	v_sub_f16_sdwa v31, v32, v37 dst_sel:DWORD dst_unused:UNUSED_PAD src0_sel:WORD_1 src1_sel:WORD_1
	v_fma_f16 v27, v69, s5, v27
	v_fma_f16 v28, v29, s12, v28
	v_add_f16_e32 v30, v30, v31
	v_fma_f16 v27, v29, s1, v27
	v_fma_f16 v28, v30, s4, v28
	;; [unrolled: 1-line block ×3, first 2 shown]
	v_mul_f16_e32 v27, 0xb8b4, v80
	s_movk_i32 s0, 0x3a79
	v_fma_f16 v37, v68, s0, v27
	v_mul_f16_e32 v27, 0xbb9c, v28
	v_fma_f16 v82, v71, s4, v27
	v_mul_f16_e32 v27, 0xbb9c, v35
	s_mov_b32 s1, 0xb4f2
	v_mul_f16_e32 v68, 0x38b4, v68
	v_mul_f16_e32 v28, 0x34f2, v28
	;; [unrolled: 1-line block ×3, first 2 shown]
	v_fma_f16 v83, v34, s1, v27
	v_mul_f16_e32 v27, 0xb8b4, v81
	s_mov_b32 s1, 0xba79
	v_fma_f16 v80, v80, s0, v68
	v_fma_f16 v28, v71, s5, v28
	;; [unrolled: 1-line block ×3, first 2 shown]
	v_mul_f16_e32 v34, 0xba79, v81
	v_add_f16_e32 v29, v73, v37
	v_add_f16_e32 v30, v70, v82
	;; [unrolled: 1-line block ×3, first 2 shown]
	v_fma_f16 v84, v36, s1, v27
	v_add_f16_e32 v72, v76, v80
	v_add_f16_e32 v71, v75, v28
	;; [unrolled: 1-line block ×3, first 2 shown]
	v_fma_f16 v81, v36, s12, v34
	v_add_f16_e32 v32, v38, v84
	v_pk_add_f16 v27, v74, v79
	v_add_f16_e32 v69, v77, v81
	v_sub_f16_e32 v34, v73, v37
	v_sub_f16_e32 v35, v70, v82
	;; [unrolled: 1-line block ×3, first 2 shown]
	v_pk_add_f16 v39, v74, v79 neg_lo:[0,1] neg_hi:[0,1]
	v_sub_f16_e32 v70, v76, v80
	v_sub_f16_e32 v73, v75, v28
	;; [unrolled: 1-line block ×3, first 2 shown]
	v_pack_b32_f16 v77, v31, v68
	v_pack_b32_f16 v76, v30, v71
	v_pack_b32_f16 v28, v29, v72
	v_sub_f16_e32 v37, v38, v84
	v_sub_f16_e32 v75, v78, v85
	ds_write2_b64 v33, v[27:28], v[76:77] offset1:1
	v_pack_b32_f16 v77, v35, v73
	v_pack_b32_f16 v76, v34, v70
	;; [unrolled: 1-line block ×3, first 2 shown]
	ds_write2_b64 v33, v[38:39], v[76:77] offset0:2 offset1:3
	v_pack_b32_f16 v77, v37, v74
	v_pack_b32_f16 v76, v36, v75
	ds_write_b64 v33, v[76:77] offset:32
	s_waitcnt lgkmcnt(0)
	s_barrier
	s_and_saveexec_b64 s[0:1], vcc
	s_cbranch_execz .LBB0_11
; %bb.10:
	v_add_u32_e32 v25, 0x400, v51
	ds_read2_b32 v[30:31], v25 offset0:24 offset1:164
	v_add_u32_e32 v25, 0x800, v51
	ds_read2_b32 v[32:33], v25 offset0:48 offset1:188
	;; [unrolled: 2-line block ×3, first 2 shown]
	v_add_u32_e32 v25, 0x1500, v51
	ds_read2_b32 v[28:29], v51 offset1:140
	ds_read2_b32 v[36:37], v67 offset0:96 offset1:236
	ds_read2_b32 v[25:26], v25 offset0:56 offset1:196
	ds_read_b32 v63, v51 offset:6720
	s_waitcnt lgkmcnt(6)
	v_lshrrev_b32_e32 v71, 16, v30
	s_waitcnt lgkmcnt(3)
	v_lshrrev_b32_e32 v72, 16, v29
	v_lshrrev_b32_e32 v68, 16, v31
	;; [unrolled: 1-line block ×5, first 2 shown]
	s_waitcnt lgkmcnt(2)
	v_lshrrev_b32_e32 v75, 16, v36
	v_lshrrev_b32_e32 v74, 16, v37
	s_waitcnt lgkmcnt(1)
	v_lshrrev_b32_e32 v66, 16, v25
	v_lshrrev_b32_e32 v65, 16, v26
	s_waitcnt lgkmcnt(0)
	v_lshrrev_b32_e32 v64, 16, v63
	v_mov_b32_e32 v27, v28
	v_mov_b32_e32 v39, v33
.LBB0_11:
	s_or_b64 exec, exec, s[0:1]
	v_mul_f16_sdwa v28, v0, v72 dst_sel:DWORD dst_unused:UNUSED_PAD src0_sel:WORD_1 src1_sel:DWORD
	v_fma_f16 v33, v0, v29, v28
	v_mul_f16_sdwa v28, v0, v29 dst_sel:DWORD dst_unused:UNUSED_PAD src0_sel:WORD_1 src1_sel:DWORD
	v_fma_f16 v28, v0, v72, -v28
	v_mul_f16_sdwa v0, v1, v71 dst_sel:DWORD dst_unused:UNUSED_PAD src0_sel:WORD_1 src1_sel:DWORD
	v_fma_f16 v38, v1, v30, v0
	v_mul_f16_sdwa v0, v1, v30 dst_sel:DWORD dst_unused:UNUSED_PAD src0_sel:WORD_1 src1_sel:DWORD
	v_fma_f16 v29, v1, v71, -v0
	;; [unrolled: 4-line block ×4, first 2 shown]
	v_lshrrev_b32_e32 v0, 16, v39
	v_mul_f16_sdwa v1, v4, v0 dst_sel:DWORD dst_unused:UNUSED_PAD src0_sel:WORD_1 src1_sel:DWORD
	v_fma_f16 v69, v4, v39, v1
	v_mul_f16_sdwa v1, v4, v39 dst_sel:DWORD dst_unused:UNUSED_PAD src0_sel:WORD_1 src1_sel:DWORD
	v_fma_f16 v32, v4, v0, -v1
	v_mul_f16_sdwa v0, v5, v70 dst_sel:DWORD dst_unused:UNUSED_PAD src0_sel:WORD_1 src1_sel:DWORD
	v_fma_f16 v39, v5, v34, v0
	v_mul_f16_sdwa v0, v5, v34 dst_sel:DWORD dst_unused:UNUSED_PAD src0_sel:WORD_1 src1_sel:DWORD
	v_fma_f16 v34, v5, v70, -v0
	;; [unrolled: 4-line block ×8, first 2 shown]
	v_sub_f16_e32 v1, v28, v63
	v_add_f16_e32 v109, v65, v33
	v_add_f16_e32 v0, v63, v28
	s_movk_i32 s4, 0x3b15
	v_mul_f16_e32 v64, 0xb770, v1
	v_sub_f16_e32 v85, v29, v26
	v_sub_f16_e32 v110, v33, v65
	s_mov_b32 s0, 0xb770
	v_mul_f16_e32 v74, 0x3b15, v0
	v_fma_f16 v2, v109, s4, -v64
	s_movk_i32 s1, 0x388b
	v_add_f16_e32 v123, v66, v38
	v_add_f16_e32 v82, v26, v29
	v_mul_f16_e32 v77, 0xba95, v85
	v_add_f16_e32 v2, v27, v2
	v_fma_f16 v3, v110, s0, v74
	s_mov_b32 s15, 0xba95
	v_sub_f16_e32 v124, v38, v66
	v_mul_f16_e32 v78, 0x388b, v82
	v_fma_f16 v81, v123, s1, -v77
	v_add_f16_sdwa v3, v27, v3 dst_sel:DWORD dst_unused:UNUSED_PAD src0_sel:WORD_1 src1_sel:DWORD
	v_mul_f16_e32 v75, 0xba95, v1
	v_add_f16_e32 v2, v81, v2
	v_fma_f16 v81, v124, s15, v78
	v_mul_f16_e32 v76, 0x388b, v0
	v_fma_f16 v4, v109, s1, -v75
	s_mov_b32 s12, 0xb5ac
	v_add_f16_e32 v3, v81, v3
	v_mul_f16_e32 v81, 0xbb7b, v85
	v_add_f16_e32 v4, v27, v4
	v_fma_f16 v5, v110, s15, v76
	s_mov_b32 s5, 0xbb7b
	v_mul_f16_e32 v83, 0xb5ac, v82
	v_fma_f16 v86, v123, s12, -v81
	v_add_f16_sdwa v5, v27, v5 dst_sel:DWORD dst_unused:UNUSED_PAD src0_sel:WORD_1 src1_sel:DWORD
	s_movk_i32 s0, 0x2fb7
	v_mul_f16_e32 v79, 0xbbf1, v1
	v_add_f16_e32 v4, v86, v4
	v_fma_f16 v86, v124, s5, v83
	s_mov_b32 s16, 0xbbf1
	v_mul_f16_e32 v80, 0x2fb7, v0
	v_fma_f16 v6, v109, s0, -v79
	s_mov_b32 s17, 0xbbc4
	v_add_f16_e32 v5, v86, v5
	v_mul_f16_e32 v86, 0xb3a8, v85
	v_add_f16_e32 v6, v27, v6
	v_fma_f16 v7, v110, s16, v80
	v_mul_f16_e32 v84, 0xbb7b, v1
	s_mov_b32 s18, 0xb3a8
	v_mul_f16_e32 v89, 0xbbc4, v82
	v_fma_f16 v88, v123, s17, -v86
	v_add_f16_sdwa v7, v27, v7 dst_sel:DWORD dst_unused:UNUSED_PAD src0_sel:WORD_1 src1_sel:DWORD
	v_mul_f16_e32 v87, 0xb5ac, v0
	v_fma_f16 v8, v109, s12, -v84
	s_mov_b32 s14, 0xb9fd
	v_mul_f16_e32 v99, 0xb3a8, v1
	v_add_f16_e32 v6, v88, v6
	v_fma_f16 v88, v124, s18, v89
	v_mul_f16_e32 v93, 0x394e, v85
	v_add_f16_e32 v8, v27, v8
	v_fma_f16 v9, v110, s5, v87
	v_mul_f16_e32 v90, 0xb94e, v1
	v_mul_f16_e32 v94, 0xb9fd, v0
	;; [unrolled: 1-line block ×3, first 2 shown]
	v_fma_f16 v0, v109, s17, -v99
	v_add_f16_e32 v7, v88, v7
	s_movk_i32 s19, 0x394e
	v_mul_f16_e32 v97, 0xb9fd, v82
	v_fma_f16 v88, v123, s14, -v93
	v_mul_f16_e32 v113, 0x3770, v85
	v_add_f16_sdwa v9, v27, v9 dst_sel:DWORD dst_unused:UNUSED_PAD src0_sel:WORD_1 src1_sel:DWORD
	s_mov_b32 s13, 0xb94e
	v_fma_f16 v10, v109, s14, -v90
	v_add_f16_e32 v0, v27, v0
	v_fma_f16 v1, v110, s18, v104
	v_add_f16_e32 v8, v88, v8
	v_fma_f16 v88, v124, s19, v97
	v_mul_f16_e32 v102, 0x3bf1, v85
	v_mul_f16_e32 v107, 0x2fb7, v82
	s_movk_i32 s21, 0x3770
	v_mul_f16_e32 v118, 0x3b15, v82
	v_fma_f16 v82, v123, s4, -v113
	v_add_f16_e32 v10, v27, v10
	v_fma_f16 v11, v110, s13, v94
	v_add_f16_sdwa v1, v27, v1 dst_sel:DWORD dst_unused:UNUSED_PAD src0_sel:WORD_1 src1_sel:DWORD
	v_add_f16_e32 v9, v88, v9
	s_movk_i32 s20, 0x3bf1
	v_fma_f16 v88, v123, s0, -v102
	v_add_f16_e32 v0, v82, v0
	v_fma_f16 v82, v124, s21, v118
	v_sub_f16_e32 v95, v30, v25
	v_add_f16_sdwa v11, v27, v11 dst_sel:DWORD dst_unused:UNUSED_PAD src0_sel:WORD_1 src1_sel:DWORD
	v_add_f16_e32 v10, v88, v10
	v_fma_f16 v88, v124, s20, v107
	v_add_f16_e32 v1, v82, v1
	v_add_f16_e32 v133, v73, v67
	;; [unrolled: 1-line block ×3, first 2 shown]
	v_mul_f16_e32 v82, 0xbbf1, v95
	v_add_f16_e32 v11, v88, v11
	v_sub_f16_e32 v134, v67, v73
	v_mul_f16_e32 v85, 0x2fb7, v91
	v_fma_f16 v88, v133, s0, -v82
	v_add_f16_e32 v2, v88, v2
	v_fma_f16 v88, v134, s16, v85
	v_add_f16_e32 v3, v88, v3
	v_mul_f16_e32 v88, 0xb3a8, v95
	v_mul_f16_e32 v92, 0xbbc4, v91
	v_fma_f16 v96, v133, s17, -v88
	v_add_f16_e32 v4, v96, v4
	v_fma_f16 v96, v134, s18, v92
	v_add_f16_e32 v5, v96, v5
	v_mul_f16_e32 v96, 0x3b7b, v95
	s_movk_i32 s22, 0x3b7b
	v_mul_f16_e32 v100, 0xb5ac, v91
	v_fma_f16 v98, v133, s12, -v96
	v_add_f16_e32 v6, v98, v6
	v_fma_f16 v98, v134, s22, v100
	v_mul_f16_e32 v105, 0x3770, v95
	v_add_f16_e32 v7, v98, v7
	v_mul_f16_e32 v111, 0x3b15, v91
	v_fma_f16 v98, v133, s4, -v105
	v_mul_f16_e32 v127, 0xb94e, v95
	v_add_f16_e32 v8, v98, v8
	v_fma_f16 v98, v134, s21, v111
	v_mul_f16_e32 v116, 0xba95, v95
	v_mul_f16_e32 v121, 0x388b, v91
	;; [unrolled: 1-line block ×3, first 2 shown]
	v_fma_f16 v91, v133, s14, -v127
	v_add_f16_e32 v9, v98, v9
	v_fma_f16 v98, v133, s1, -v116
	v_add_f16_e32 v0, v91, v0
	v_fma_f16 v91, v134, s13, v131
	v_sub_f16_e32 v106, v31, v37
	v_add_f16_e32 v10, v98, v10
	v_fma_f16 v98, v134, s15, v121
	v_add_f16_e32 v1, v91, v1
	v_add_f16_e32 v141, v72, v68
	;; [unrolled: 1-line block ×3, first 2 shown]
	v_mul_f16_e32 v91, 0xbb7b, v106
	v_add_f16_e32 v11, v98, v11
	v_sub_f16_e32 v142, v68, v72
	v_mul_f16_e32 v95, 0xb5ac, v101
	v_fma_f16 v98, v141, s12, -v91
	v_add_f16_e32 v2, v98, v2
	v_fma_f16 v98, v142, s5, v95
	v_add_f16_e32 v3, v98, v3
	v_mul_f16_e32 v98, 0x394e, v106
	v_mul_f16_e32 v103, 0xb9fd, v101
	v_fma_f16 v108, v141, s14, -v98
	v_add_f16_e32 v4, v108, v4
	v_fma_f16 v108, v142, s19, v103
	v_add_f16_e32 v5, v108, v5
	v_mul_f16_e32 v108, 0x3770, v106
	v_mul_f16_e32 v114, 0x3b15, v101
	v_fma_f16 v112, v141, s4, -v108
	v_add_f16_e32 v6, v112, v6
	v_fma_f16 v112, v142, s21, v114
	v_mul_f16_e32 v119, 0xbbf1, v106
	v_add_f16_e32 v7, v112, v7
	v_mul_f16_e32 v125, 0x2fb7, v101
	v_fma_f16 v112, v141, s0, -v119
	v_mul_f16_e32 v139, 0x3a95, v106
	v_add_f16_e32 v8, v112, v8
	v_fma_f16 v112, v142, s16, v125
	v_mul_f16_e32 v129, 0x33a8, v106
	v_mul_f16_e32 v135, 0xbbc4, v101
	s_movk_i32 s19, 0x3a95
	v_mul_f16_e32 v143, 0x388b, v101
	v_fma_f16 v101, v141, s1, -v139
	v_add_f16_e32 v9, v112, v9
	s_movk_i32 s16, 0x33a8
	v_fma_f16 v112, v141, s17, -v129
	v_add_f16_e32 v0, v101, v0
	v_fma_f16 v101, v142, s19, v143
	v_sub_f16_e32 v120, v32, v36
	v_add_f16_e32 v10, v112, v10
	v_fma_f16 v112, v142, s16, v135
	v_add_f16_e32 v1, v101, v1
	v_add_f16_e32 v148, v71, v69
	;; [unrolled: 1-line block ×3, first 2 shown]
	v_mul_f16_e32 v101, 0xb94e, v120
	v_add_f16_e32 v11, v112, v11
	v_sub_f16_e32 v149, v69, v71
	v_mul_f16_e32 v106, 0xb9fd, v115
	v_fma_f16 v112, v148, s14, -v101
	v_add_f16_e32 v2, v112, v2
	v_fma_f16 v112, v149, s13, v106
	v_add_f16_e32 v3, v112, v3
	v_mul_f16_e32 v112, 0x3bf1, v120
	v_mul_f16_e32 v117, 0x2fb7, v115
	v_fma_f16 v122, v148, s0, -v112
	v_add_f16_e32 v4, v122, v4
	v_fma_f16 v122, v149, s20, v117
	v_add_f16_e32 v136, v122, v5
	v_mul_f16_e32 v122, 0xba95, v120
	v_mul_f16_e32 v128, 0x388b, v115
	v_fma_f16 v5, v148, s1, -v122
	v_add_f16_e32 v6, v5, v6
	v_fma_f16 v5, v149, s15, v128
	v_mul_f16_e32 v132, 0x33a8, v120
	v_add_f16_e32 v144, v5, v7
	v_mul_f16_e32 v137, 0xbbc4, v115
	v_fma_f16 v5, v148, s17, -v132
	v_add_f16_e32 v8, v5, v8
	v_fma_f16 v5, v149, s16, v137
	v_mul_f16_e32 v140, 0x3770, v120
	v_add_f16_e32 v9, v5, v9
	;; [unrolled: 6-line block ×3, first 2 shown]
	v_mul_f16_e32 v151, 0xb5ac, v115
	v_fma_f16 v5, v148, s12, -v147
	v_sub_f16_e32 v158, v34, v35
	v_add_f16_e32 v0, v5, v0
	v_fma_f16 v5, v149, s5, v151
	v_add_f16_e32 v153, v70, v39
	v_add_f16_e32 v156, v35, v34
	v_mul_f16_e32 v115, 0xb3a8, v158
	v_add_f16_e32 v157, v5, v1
	v_sub_f16_e32 v154, v39, v70
	v_mul_f16_e32 v120, 0xbbc4, v156
	v_fma_f16 v1, v153, s17, -v115
	v_add_f16_e32 v1, v1, v2
	v_fma_f16 v2, v154, s18, v120
	v_mul_f16_e32 v126, 0x3770, v158
	v_add_f16_e32 v5, v2, v3
	v_mul_f16_e32 v130, 0x3b15, v156
	v_fma_f16 v2, v153, s4, -v126
	v_add_f16_e32 v3, v2, v4
	v_fma_f16 v2, v154, s21, v130
	v_add_f16_e32 v7, v2, v136
	v_mul_f16_e32 v136, 0xb94e, v158
	v_mul_f16_e32 v138, 0xb9fd, v156
	v_fma_f16 v2, v153, s14, -v136
	v_add_f16_e32 v4, v2, v6
	v_fma_f16 v2, v154, s13, v138
	v_add_f16_e32 v10, v2, v144
	v_mul_f16_e32 v144, 0x3a95, v158
	v_mul_f16_e32 v146, 0x388b, v156
	v_fma_f16 v2, v153, s1, -v144
	v_fma_f16 v6, v154, s19, v146
	v_mul_f16_e32 v150, 0xbb7b, v158
	v_add_f16_e32 v2, v2, v8
	v_add_f16_e32 v8, v6, v9
	v_mul_f16_e32 v152, 0xb5ac, v156
	v_fma_f16 v6, v153, s12, -v150
	v_add_f16_e32 v6, v6, v155
	v_fma_f16 v9, v154, s5, v152
	v_mul_f16_e32 v155, 0x3bf1, v158
	v_add_f16_e32 v11, v9, v11
	v_mul_f16_e32 v156, 0x2fb7, v156
	v_fma_f16 v9, v153, s0, -v155
	v_add_f16_e32 v0, v9, v0
	v_fma_f16 v9, v154, s20, v156
	v_add_f16_e32 v9, v9, v157
	s_barrier
	s_and_saveexec_b64 s[0:1], vcc
	s_cbranch_execz .LBB0_13
; %bb.12:
	v_mul_f16_e32 v157, 0x3b15, v109
	v_mul_f16_e32 v158, 0xb770, v110
	;; [unrolled: 1-line block ×12, first 2 shown]
	v_sub_f16_e32 v104, v104, v110
	v_add_f16_e32 v99, v109, v99
	v_sub_f16_e32 v94, v94, v166
	v_add_f16_e32 v90, v165, v90
	;; [unrolled: 2-line block ×6, first 2 shown]
	v_add_f16_sdwa v104, v27, v104 dst_sel:DWORD dst_unused:UNUSED_PAD src0_sel:WORD_1 src1_sel:DWORD
	v_add_f16_e32 v99, v27, v99
	v_add_f16_sdwa v94, v27, v94 dst_sel:DWORD dst_unused:UNUSED_PAD src0_sel:WORD_1 src1_sel:DWORD
	v_add_f16_e32 v90, v27, v90
	;; [unrolled: 2-line block ×6, first 2 shown]
	v_add_f16_e32 v33, v27, v33
	v_add_f16_sdwa v27, v28, v27 dst_sel:DWORD dst_unused:UNUSED_PAD src0_sel:DWORD src1_sel:WORD_1
	v_add_f16_e32 v33, v38, v33
	v_add_f16_e32 v27, v29, v27
	;; [unrolled: 1-line block ×8, first 2 shown]
	v_mul_f16_e32 v167, 0x388b, v123
	v_mul_f16_e32 v168, 0xba95, v124
	v_add_f16_e32 v33, v39, v33
	v_add_f16_e32 v27, v34, v27
	v_mul_f16_e32 v169, 0xb5ac, v123
	v_mul_f16_e32 v170, 0xbb7b, v124
	;; [unrolled: 1-line block ×6, first 2 shown]
	v_sub_f16_e32 v78, v78, v168
	v_add_f16_e32 v77, v167, v77
	v_add_f16_e32 v33, v70, v33
	;; [unrolled: 1-line block ×3, first 2 shown]
	v_mul_f16_e32 v173, 0xb9fd, v123
	v_mul_f16_e32 v174, 0x394e, v124
	;; [unrolled: 1-line block ×10, first 2 shown]
	v_sub_f16_e32 v89, v89, v172
	v_add_f16_e32 v86, v171, v86
	v_sub_f16_e32 v83, v83, v170
	v_add_f16_e32 v81, v169, v81
	v_add_f16_e32 v74, v78, v74
	v_sub_f16_e32 v78, v85, v178
	v_add_f16_e32 v64, v77, v64
	v_add_f16_e32 v77, v177, v82
	;; [unrolled: 1-line block ×4, first 2 shown]
	v_mul_f16_e32 v123, 0x3b15, v123
	v_mul_f16_e32 v124, 0x3770, v124
	;; [unrolled: 1-line block ×12, first 2 shown]
	v_sub_f16_e32 v107, v107, v176
	v_add_f16_e32 v102, v175, v102
	v_sub_f16_e32 v97, v97, v174
	v_add_f16_e32 v93, v173, v93
	v_add_f16_e32 v80, v89, v80
	v_sub_f16_e32 v89, v100, v182
	v_add_f16_e32 v79, v86, v79
	v_add_f16_e32 v86, v181, v96
	v_add_f16_e32 v76, v83, v76
	v_sub_f16_e32 v83, v92, v180
	v_add_f16_e32 v75, v81, v75
	;; [unrolled: 4-line block ×3, first 2 shown]
	v_add_f16_e32 v77, v187, v91
	v_add_f16_e32 v33, v72, v33
	;; [unrolled: 1-line block ×3, first 2 shown]
	v_mul_f16_e32 v133, 0xb9fd, v133
	v_mul_f16_e32 v134, 0xb94e, v134
	;; [unrolled: 1-line block ×12, first 2 shown]
	v_sub_f16_e32 v110, v118, v124
	v_add_f16_e32 v109, v123, v113
	v_add_f16_e32 v94, v107, v94
	v_sub_f16_e32 v107, v121, v186
	v_add_f16_e32 v90, v102, v90
	v_add_f16_e32 v102, v185, v116
	v_add_f16_e32 v87, v97, v87
	v_sub_f16_e32 v97, v111, v184
	v_add_f16_e32 v84, v93, v84
	;; [unrolled: 4-line block ×5, first 2 shown]
	v_add_f16_e32 v77, v197, v101
	v_add_f16_e32 v33, v73, v33
	;; [unrolled: 1-line block ×3, first 2 shown]
	v_mul_f16_e32 v141, 0x388b, v141
	v_mul_f16_e32 v142, 0x3a95, v142
	;; [unrolled: 1-line block ×10, first 2 shown]
	v_add_f16_e32 v104, v110, v104
	v_sub_f16_e32 v110, v131, v134
	v_add_f16_e32 v99, v109, v99
	v_add_f16_e32 v109, v133, v127
	v_add_f16_e32 v94, v107, v94
	v_sub_f16_e32 v107, v135, v196
	v_add_f16_e32 v90, v102, v90
	v_add_f16_e32 v102, v195, v129
	;; [unrolled: 4-line block ×6, first 2 shown]
	v_add_f16_e32 v33, v66, v33
	v_add_f16_e32 v25, v26, v25
	v_mul_f16_e32 v148, 0xb5ac, v148
	v_mul_f16_e32 v149, 0xbb7b, v149
	;; [unrolled: 1-line block ×6, first 2 shown]
	v_add_f16_e32 v104, v110, v104
	v_sub_f16_e32 v110, v143, v142
	v_add_f16_e32 v99, v109, v99
	v_add_f16_e32 v109, v141, v139
	v_add_f16_e32 v94, v107, v94
	v_sub_f16_e32 v107, v145, v206
	v_add_f16_e32 v90, v102, v90
	v_add_f16_e32 v102, v205, v140
	;; [unrolled: 4-line block ×5, first 2 shown]
	v_add_f16_e32 v74, v78, v74
	v_add_f16_e32 v64, v77, v64
	;; [unrolled: 1-line block ×4, first 2 shown]
	v_mul_u32_u24_e32 v26, 0x82, v52
	v_mul_f16_e32 v153, 0x2fb7, v153
	v_mul_f16_e32 v154, 0x3bf1, v154
	v_add_f16_e32 v104, v110, v104
	v_sub_f16_e32 v110, v151, v149
	v_add_f16_e32 v99, v109, v99
	v_add_f16_e32 v109, v148, v147
	v_add_f16_e32 v94, v107, v94
	v_sub_f16_e32 v107, v152, v216
	v_add_f16_e32 v90, v102, v90
	v_add_f16_e32 v102, v215, v150
	;; [unrolled: 4-line block ×3, first 2 shown]
	v_add_f16_e32 v80, v89, v80
	v_add_f16_e32 v79, v86, v79
	;; [unrolled: 1-line block ×4, first 2 shown]
	v_add_lshl_u32 v26, v26, v53, 2
	v_pack_b32_f16 v25, v33, v25
	v_pack_b32_f16 v27, v64, v74
	v_add_f16_e32 v104, v110, v104
	v_sub_f16_e32 v110, v156, v154
	v_add_f16_e32 v99, v109, v99
	v_add_f16_e32 v109, v153, v155
	v_add_f16_e32 v94, v107, v94
	v_add_f16_e32 v90, v102, v90
	v_add_f16_e32 v87, v97, v87
	v_add_f16_e32 v84, v93, v84
	ds_write2_b32 v26, v25, v27 offset1:10
	v_pack_b32_f16 v25, v75, v76
	v_pack_b32_f16 v27, v79, v80
	v_add_f16_e32 v104, v110, v104
	v_add_f16_e32 v99, v109, v99
	ds_write2_b32 v26, v25, v27 offset0:20 offset1:30
	v_pack_b32_f16 v25, v84, v87
	v_pack_b32_f16 v27, v90, v94
	s_mov_b32 s4, 0x5040100
	ds_write2_b32 v26, v25, v27 offset0:40 offset1:50
	v_pack_b32_f16 v25, v99, v104
	v_perm_b32 v27, v9, v0, s4
	ds_write2_b32 v26, v25, v27 offset0:60 offset1:70
	v_perm_b32 v25, v11, v6, s4
	v_perm_b32 v27, v8, v2, s4
	ds_write2_b32 v26, v25, v27 offset0:80 offset1:90
	v_perm_b32 v25, v10, v4, s4
	;; [unrolled: 3-line block ×3, first 2 shown]
	ds_write_b32 v26, v25 offset:480
.LBB0_13:
	s_or_b64 exec, exec, s[0:1]
	s_waitcnt lgkmcnt(0)
	s_barrier
	ds_read_b32 v25, v51
	ds_read_b32 v31, v51 offset:1040
	ds_read_b32 v30, v51 offset:2080
	;; [unrolled: 1-line block ×6, first 2 shown]
	s_and_saveexec_b64 s[0:1], s[2:3]
	s_cbranch_execz .LBB0_15
; %bb.14:
	ds_read_b32 v0, v51 offset:728
	ds_read_b32 v6, v51 offset:1768
	;; [unrolled: 1-line block ×7, first 2 shown]
	s_waitcnt lgkmcnt(6)
	v_lshrrev_b32_e32 v9, 16, v0
	s_waitcnt lgkmcnt(5)
	v_lshrrev_b32_e32 v11, 16, v6
	;; [unrolled: 2-line block ×7, first 2 shown]
.LBB0_15:
	s_or_b64 exec, exec, s[0:1]
	s_waitcnt lgkmcnt(5)
	v_lshrrev_b32_e32 v32, 16, v31
	v_mul_f16_sdwa v38, v16, v32 dst_sel:DWORD dst_unused:UNUSED_PAD src0_sel:WORD_1 src1_sel:DWORD
	s_waitcnt lgkmcnt(4)
	v_lshrrev_b32_e32 v33, 16, v30
	v_fma_f16 v38, v16, v31, v38
	v_mul_f16_sdwa v31, v16, v31 dst_sel:DWORD dst_unused:UNUSED_PAD src0_sel:WORD_1 src1_sel:DWORD
	v_fma_f16 v16, v16, v32, -v31
	v_mul_f16_sdwa v31, v17, v33 dst_sel:DWORD dst_unused:UNUSED_PAD src0_sel:WORD_1 src1_sel:DWORD
	s_waitcnt lgkmcnt(3)
	v_lshrrev_b32_e32 v34, 16, v29
	v_fma_f16 v31, v17, v30, v31
	v_mul_f16_sdwa v30, v17, v30 dst_sel:DWORD dst_unused:UNUSED_PAD src0_sel:WORD_1 src1_sel:DWORD
	v_fma_f16 v17, v17, v33, -v30
	;; [unrolled: 6-line block ×5, first 2 shown]
	v_mul_f16_sdwa v27, v24, v37 dst_sel:DWORD dst_unused:UNUSED_PAD src0_sel:WORD_1 src1_sel:DWORD
	v_fma_f16 v27, v24, v26, v27
	v_mul_f16_sdwa v26, v24, v26 dst_sel:DWORD dst_unused:UNUSED_PAD src0_sel:WORD_1 src1_sel:DWORD
	v_fma_f16 v24, v24, v37, -v26
	v_add_f16_e32 v26, v38, v27
	v_add_f16_e32 v32, v16, v24
	v_sub_f16_e32 v16, v16, v24
	v_add_f16_e32 v24, v31, v28
	v_add_f16_e32 v33, v17, v23
	v_sub_f16_e32 v28, v31, v28
	v_sub_f16_e32 v17, v17, v23
	v_add_f16_e32 v23, v30, v29
	v_add_f16_e32 v31, v18, v19
	v_sub_f16_e32 v29, v29, v30
	v_sub_f16_e32 v18, v19, v18
	v_add_f16_e32 v19, v24, v26
	v_add_f16_e32 v30, v33, v32
	v_sub_f16_e32 v27, v38, v27
	v_sub_f16_e32 v34, v24, v26
	v_sub_f16_e32 v35, v33, v32
	;; [unrolled: 1-line block ×6, first 2 shown]
	v_add_f16_e32 v36, v29, v28
	v_add_f16_e32 v37, v18, v17
	v_sub_f16_e32 v38, v29, v28
	v_sub_f16_e32 v39, v18, v17
	v_add_f16_e32 v19, v23, v19
	v_add_f16_e32 v23, v31, v30
	v_sub_f16_e32 v29, v27, v29
	v_sub_f16_e32 v18, v16, v18
	;; [unrolled: 1-line block ×4, first 2 shown]
	v_add_f16_e32 v27, v36, v27
	v_add_f16_e32 v16, v37, v16
	;; [unrolled: 1-line block ×3, first 2 shown]
	v_add_f16_sdwa v25, v25, v23 dst_sel:DWORD dst_unused:UNUSED_PAD src0_sel:WORD_1 src1_sel:DWORD
	v_mul_f16_e32 v26, 0x3a52, v26
	v_mul_f16_e32 v31, 0x3a52, v32
	s_movk_i32 s15, 0x2b26
	v_mul_f16_e32 v32, 0x2b26, v24
	v_mul_f16_e32 v36, 0x2b26, v33
	;; [unrolled: 1-line block ×4, first 2 shown]
	s_mov_b32 s16, 0xbcab
	s_movk_i32 s5, 0x39e0
	s_mov_b32 s12, 0xb9e0
	s_mov_b32 s17, 0xb574
	s_mov_b32 s4, 0xbb00
	v_mul_f16_e32 v39, 0xbb00, v28
	v_mul_f16_e32 v52, 0xbb00, v17
	v_fma_f16 v19, v19, s16, v30
	v_fma_f16 v23, v23, s16, v25
	;; [unrolled: 1-line block ×4, first 2 shown]
	v_fma_f16 v32, v34, s5, -v32
	v_fma_f16 v36, v35, s5, -v36
	;; [unrolled: 1-line block ×4, first 2 shown]
	v_fma_f16 v34, v29, s17, v37
	v_fma_f16 v35, v18, s17, v38
	s_movk_i32 s13, 0x3574
	s_mov_b32 s14, 0xb70e
	v_fma_f16 v28, v28, s4, -v37
	v_fma_f16 v17, v17, s4, -v38
	v_fma_f16 v29, v29, s13, -v39
	v_fma_f16 v18, v18, s13, -v52
	v_add_f16_e32 v24, v24, v19
	v_add_f16_e32 v33, v33, v23
	;; [unrolled: 1-line block ×6, first 2 shown]
	v_fma_f16 v26, v27, s14, v34
	v_fma_f16 v31, v16, s14, v35
	;; [unrolled: 1-line block ×6, first 2 shown]
	v_add_f16_e32 v18, v31, v24
	v_sub_f16_e32 v29, v33, v26
	v_add_f16_e32 v34, v16, v19
	v_sub_f16_e32 v35, v23, v27
	v_sub_f16_e32 v37, v32, v17
	v_add_f16_e32 v38, v28, v36
	v_pack_b32_f16 v25, v30, v25
	v_pack_b32_f16 v18, v18, v29
	v_add_f16_e32 v17, v17, v32
	v_sub_f16_e32 v28, v36, v28
	v_sub_f16_e32 v16, v19, v16
	v_add_f16_e32 v19, v27, v23
	v_sub_f16_e32 v23, v24, v31
	v_add_f16_e32 v24, v26, v33
	s_barrier
	ds_write2_b32 v62, v25, v18 offset1:130
	v_pack_b32_f16 v18, v34, v35
	v_pack_b32_f16 v25, v37, v38
	v_add_u32_e32 v26, 0x400, v62
	ds_write2_b32 v26, v18, v25 offset0:4 offset1:134
	v_pack_b32_f16 v17, v17, v28
	v_pack_b32_f16 v16, v16, v19
	v_add_u32_e32 v18, 0x800, v62
	ds_write2_b32 v18, v17, v16 offset0:8 offset1:138
	v_pack_b32_f16 v16, v23, v24
	ds_write_b32 v62, v16 offset:3120
	s_and_saveexec_b64 s[0:1], s[2:3]
	s_cbranch_execz .LBB0_17
; %bb.16:
	v_mul_f16_sdwa v16, v12, v11 dst_sel:DWORD dst_unused:UNUSED_PAD src0_sel:WORD_1 src1_sel:DWORD
	v_mul_f16_sdwa v26, v13, v8 dst_sel:DWORD dst_unused:UNUSED_PAD src0_sel:WORD_1 src1_sel:DWORD
	;; [unrolled: 1-line block ×3, first 2 shown]
	v_fma_f16 v16, v12, v6, v16
	v_mul_f16_sdwa v17, v22, v61 dst_sel:DWORD dst_unused:UNUSED_PAD src0_sel:WORD_1 src1_sel:DWORD
	v_mul_f16_sdwa v19, v15, v7 dst_sel:DWORD dst_unused:UNUSED_PAD src0_sel:WORD_1 src1_sel:DWORD
	;; [unrolled: 1-line block ×3, first 2 shown]
	v_fma_f16 v26, v13, v2, v26
	v_fma_f16 v27, v21, v1, v27
	v_mul_f16_sdwa v31, v22, v60 dst_sel:DWORD dst_unused:UNUSED_PAD src0_sel:WORD_1 src1_sel:DWORD
	v_mul_f16_sdwa v6, v12, v6 dst_sel:DWORD dst_unused:UNUSED_PAD src0_sel:WORD_1 src1_sel:DWORD
	;; [unrolled: 1-line block ×4, first 2 shown]
	v_fma_f16 v17, v22, v60, v17
	v_fma_f16 v19, v15, v3, v19
	;; [unrolled: 1-line block ×3, first 2 shown]
	v_fma_f16 v22, v22, v61, -v31
	v_fma_f16 v6, v12, v11, -v6
	v_mul_f16_sdwa v4, v14, v4 dst_sel:DWORD dst_unused:UNUSED_PAD src0_sel:WORD_1 src1_sel:DWORD
	v_mul_f16_sdwa v3, v15, v3 dst_sel:DWORD dst_unused:UNUSED_PAD src0_sel:WORD_1 src1_sel:DWORD
	v_fma_f16 v1, v21, v5, -v1
	v_fma_f16 v2, v13, v8, -v2
	v_add_f16_e32 v11, v22, v6
	v_fma_f16 v4, v14, v10, -v4
	v_fma_f16 v3, v15, v7, -v3
	v_add_f16_e32 v5, v1, v2
	v_sub_f16_e32 v18, v16, v17
	v_add_f16_e32 v7, v4, v3
	v_add_f16_e32 v13, v5, v11
	;; [unrolled: 1-line block ×4, first 2 shown]
	v_sub_f16_e32 v24, v19, v23
	v_sub_f16_e32 v28, v26, v27
	v_sub_f16_e32 v10, v11, v7
	v_sub_f16_e32 v8, v7, v5
	v_add_f16_e32 v7, v7, v13
	v_add_f16_e32 v15, v23, v19
	;; [unrolled: 1-line block ×3, first 2 shown]
	v_sub_f16_e32 v3, v3, v4
	v_sub_f16_e32 v1, v2, v1
	;; [unrolled: 1-line block ×4, first 2 shown]
	v_add_f16_e32 v24, v24, v28
	v_mul_f16_e32 v10, 0x3a52, v10
	v_mul_f16_e32 v12, 0x2b26, v8
	v_add_f16_e32 v9, v9, v7
	v_sub_f16_e32 v16, v14, v15
	v_sub_f16_e32 v19, v15, v17
	v_add_f16_e32 v15, v15, v23
	v_sub_f16_e32 v6, v6, v22
	v_sub_f16_e32 v2, v3, v1
	;; [unrolled: 1-line block ×3, first 2 shown]
	v_mul_f16_e32 v29, 0x3846, v29
	v_add_f16_e32 v24, v24, v18
	v_fma_f16 v8, v8, s15, v10
	v_fma_f16 v7, v7, s16, v9
	v_mul_f16_e32 v16, 0x3a52, v16
	v_add_f16_e32 v0, v0, v15
	v_sub_f16_e32 v4, v6, v3
	v_mul_f16_e32 v2, 0x3846, v2
	v_add_f16_e32 v3, v3, v1
	v_sub_f16_e32 v18, v28, v18
	v_fma_f16 v10, v5, s12, -v10
	v_sub_f16_e32 v1, v1, v6
	v_fma_f16 v5, v5, s5, -v12
	v_fma_f16 v30, v25, s17, v29
	v_add_f16_e32 v8, v8, v7
	v_mul_f16_e32 v21, 0x2b26, v19
	v_fma_f16 v19, v19, s15, v16
	v_fma_f16 v15, v15, s16, v0
	;; [unrolled: 1-line block ×3, first 2 shown]
	v_add_f16_e32 v3, v3, v6
	v_mul_f16_e32 v26, 0xbb00, v18
	v_add_f16_e32 v10, v10, v7
	v_sub_f16_e32 v14, v17, v14
	v_mul_f16_e32 v6, 0xbb00, v1
	v_add_f16_e32 v5, v5, v7
	v_fma_f16 v7, v18, s4, -v29
	v_fma_f16 v30, v24, s14, v30
	v_add_f16_e32 v19, v19, v15
	v_fma_f16 v22, v3, s14, v22
	v_fma_f16 v25, v25, s13, -v26
	v_fma_f16 v16, v14, s12, -v16
	;; [unrolled: 1-line block ×3, first 2 shown]
	v_fma_f16 v7, v24, s14, v7
	v_fma_f16 v1, v1, s4, -v2
	v_fma_f16 v2, v14, s5, -v21
	v_add_f16_e32 v13, v30, v8
	v_fma_f16 v25, v24, s14, v25
	v_add_f16_e32 v16, v16, v15
	v_fma_f16 v4, v3, s14, v4
	v_sub_f16_e32 v12, v5, v7
	v_fma_f16 v1, v3, s14, v1
	v_add_f16_e32 v2, v2, v15
	v_add_f16_e32 v5, v7, v5
	v_sub_f16_e32 v7, v8, v30
	v_add_f16_e32 v8, v22, v19
	v_sub_f16_e32 v6, v16, v4
	v_add_f16_e32 v3, v1, v2
	v_sub_f16_e32 v1, v2, v1
	v_sub_f16_e32 v2, v10, v25
	v_add_f16_e32 v4, v4, v16
	v_pack_b32_f16 v0, v0, v9
	v_pack_b32_f16 v7, v8, v7
	v_add_u32_e32 v8, 0xe00, v54
	v_add_f16_e32 v11, v25, v10
	ds_write2_b32 v8, v0, v7 offset0:14 offset1:144
	v_pack_b32_f16 v0, v4, v2
	v_pack_b32_f16 v1, v1, v5
	v_add_u32_e32 v2, 0x1200, v54
	v_sub_f16_e32 v23, v19, v22
	ds_write2_b32 v2, v0, v1 offset0:18 offset1:148
	v_pack_b32_f16 v0, v3, v12
	v_pack_b32_f16 v1, v6, v11
	v_add_u32_e32 v2, 0x1600, v54
	ds_write2_b32 v2, v0, v1 offset0:22 offset1:152
	v_pack_b32_f16 v0, v23, v13
	ds_write_b32 v54, v0 offset:6760
.LBB0_17:
	s_or_b64 exec, exec, s[0:1]
	v_add_u32_e32 v3, 0xb00, v51
	s_waitcnt lgkmcnt(0)
	s_barrier
	ds_read2_b32 v[6:7], v3 offset0:24 offset1:206
	v_add_u32_e32 v2, 0x1000, v51
	ds_read2_b32 v[8:9], v2 offset0:68 offset1:250
	v_add_u32_e32 v1, 0x1600, v51
	ds_read2_b32 v[12:13], v1 offset0:48 offset1:230
	s_waitcnt lgkmcnt(2)
	v_lshrrev_b32_e32 v14, 16, v7
	v_mul_f16_sdwa v25, v55, v14 dst_sel:DWORD dst_unused:UNUSED_PAD src0_sel:WORD_1 src1_sel:DWORD
	s_waitcnt lgkmcnt(1)
	v_lshrrev_b32_e32 v17, 16, v8
	v_fma_f16 v25, v55, v7, v25
	v_mul_f16_sdwa v7, v55, v7 dst_sel:DWORD dst_unused:UNUSED_PAD src0_sel:WORD_1 src1_sel:DWORD
	v_fma_f16 v7, v55, v14, -v7
	v_mul_f16_sdwa v14, v56, v17 dst_sel:DWORD dst_unused:UNUSED_PAD src0_sel:WORD_1 src1_sel:DWORD
	v_lshrrev_b32_e32 v19, 16, v9
	v_fma_f16 v14, v56, v8, v14
	v_mul_f16_sdwa v8, v56, v8 dst_sel:DWORD dst_unused:UNUSED_PAD src0_sel:WORD_1 src1_sel:DWORD
	ds_read2_b32 v[4:5], v51 offset1:182
	v_fma_f16 v8, v56, v17, -v8
	v_mul_f16_sdwa v17, v57, v19 dst_sel:DWORD dst_unused:UNUSED_PAD src0_sel:WORD_1 src1_sel:DWORD
	s_waitcnt lgkmcnt(1)
	v_lshrrev_b32_e32 v22, 16, v12
	v_fma_f16 v17, v57, v9, v17
	v_mul_f16_sdwa v9, v57, v9 dst_sel:DWORD dst_unused:UNUSED_PAD src0_sel:WORD_1 src1_sel:DWORD
	v_add_u32_e32 v15, 0x500, v51
	v_fma_f16 v9, v57, v19, -v9
	v_mul_f16_sdwa v19, v58, v22 dst_sel:DWORD dst_unused:UNUSED_PAD src0_sel:WORD_1 src1_sel:DWORD
	ds_read2_b32 v[10:11], v15 offset0:44 offset1:226
	v_lshrrev_b32_e32 v24, 16, v13
	v_fma_f16 v19, v58, v12, v19
	v_mul_f16_sdwa v12, v58, v12 dst_sel:DWORD dst_unused:UNUSED_PAD src0_sel:WORD_1 src1_sel:DWORD
	v_fma_f16 v12, v58, v22, -v12
	v_mul_f16_sdwa v22, v59, v24 dst_sel:DWORD dst_unused:UNUSED_PAD src0_sel:WORD_1 src1_sel:DWORD
	s_waitcnt lgkmcnt(1)
	v_lshrrev_b32_e32 v0, 16, v4
	v_fma_f16 v22, v59, v13, v22
	v_mul_f16_sdwa v13, v59, v13 dst_sel:DWORD dst_unused:UNUSED_PAD src0_sel:WORD_1 src1_sel:DWORD
	v_lshrrev_b32_e32 v16, 16, v5
	v_fma_f16 v13, v59, v24, -v13
	v_sub_f16_e32 v24, v4, v25
	v_sub_f16_e32 v7, v0, v7
	v_fma_f16 v4, v4, 2.0, -v24
	v_fma_f16 v0, v0, 2.0, -v7
	v_sub_f16_e32 v14, v5, v14
	v_sub_f16_e32 v8, v16, v8
	s_waitcnt lgkmcnt(0)
	v_lshrrev_b32_e32 v18, 16, v10
	v_lshrrev_b32_e32 v21, 16, v11
	v_fma_f16 v5, v5, 2.0, -v14
	v_fma_f16 v16, v16, 2.0, -v8
	v_pack_b32_f16 v0, v4, v0
	v_pack_b32_f16 v4, v24, v7
	v_lshrrev_b32_e32 v23, 16, v6
	v_sub_f16_e32 v17, v10, v17
	v_sub_f16_e32 v9, v18, v9
	;; [unrolled: 1-line block ×4, first 2 shown]
	ds_write_b32 v51, v4 offset:3640
	v_pack_b32_f16 v4, v5, v16
	v_fma_f16 v10, v10, 2.0, -v17
	v_fma_f16 v18, v18, 2.0, -v9
	;; [unrolled: 1-line block ×4, first 2 shown]
	v_sub_f16_e32 v22, v6, v22
	v_sub_f16_e32 v13, v23, v13
	ds_write2_b32 v51, v0, v4 offset1:182
	v_pack_b32_f16 v0, v14, v8
	v_pack_b32_f16 v5, v17, v9
	v_fma_f16 v6, v6, 2.0, -v22
	v_fma_f16 v23, v23, 2.0, -v13
	v_pack_b32_f16 v4, v10, v18
	ds_write2_b32 v2, v0, v5 offset0:68 offset1:250
	v_pack_b32_f16 v0, v11, v21
	ds_write2_b32 v15, v4, v0 offset0:44 offset1:226
	v_pack_b32_f16 v4, v6, v23
	v_pack_b32_f16 v0, v19, v12
	ds_write_b32 v51, v4 offset:2912
	v_pack_b32_f16 v4, v22, v13
	ds_write2_b32 v1, v0, v4 offset0:48 offset1:230
	s_waitcnt lgkmcnt(0)
	s_barrier
	ds_read2_b32 v[4:5], v51 offset1:182
	s_mov_b32 s2, 0x12012012
	s_mov_b32 s3, 0x3f420120
	v_mad_u64_u32 v[6:7], s[0:1], s10, v20, 0
	s_waitcnt lgkmcnt(0)
	v_lshrrev_b32_e32 v12, 16, v4
	v_mul_f16_sdwa v0, v50, v12 dst_sel:DWORD dst_unused:UNUSED_PAD src0_sel:WORD_1 src1_sel:DWORD
	v_fma_f16 v0, v50, v4, v0
	v_cvt_f32_f16_e32 v0, v0
	s_movk_i32 s4, 0x1ff
	s_movk_i32 s5, 0xffe
	v_mul_f16_sdwa v4, v50, v4 dst_sel:DWORD dst_unused:UNUSED_PAD src0_sel:WORD_1 src1_sel:DWORD
	v_cvt_f64_f32_e32 v[8:9], v0
	v_mov_b32_e32 v0, v7
	v_mad_u64_u32 v[10:11], s[0:1], s11, v20, v[0:1]
	v_mul_f64 v[8:9], v[8:9], s[2:3]
	v_fma_f16 v4, v50, v12, -v4
	v_mov_b32_e32 v7, v10
	v_cvt_f32_f16_e32 v4, v4
	s_movk_i32 s10, 0x40f
	s_mov_b32 s11, 0x8000
	v_lshlrev_b64 v[6:7], 2, v[6:7]
	v_and_or_b32 v0, v9, s4, v8
	v_cmp_ne_u32_e32 vcc, 0, v0
	v_cndmask_b32_e64 v0, 0, 1, vcc
	v_lshrrev_b32_e32 v8, 8, v9
	v_bfe_u32 v10, v9, 20, 11
	v_and_or_b32 v8, v8, s5, v0
	v_sub_u32_e32 v11, 0x3f1, v10
	v_or_b32_e32 v0, 0x1000, v8
	v_med3_i32 v11, v11, 0, 13
	v_lshrrev_b32_e32 v13, v11, v0
	v_lshlrev_b32_e32 v11, v11, v13
	v_cmp_ne_u32_e32 vcc, v11, v0
	v_cndmask_b32_e64 v0, 0, 1, vcc
	v_or_b32_e32 v0, v13, v0
	v_add_u32_e32 v13, 0xfffffc10, v10
	v_lshl_or_b32 v10, v13, 12, v8
	v_cmp_gt_i32_e32 vcc, 1, v13
	v_cndmask_b32_e32 v0, v10, v0, vcc
	v_and_b32_e32 v10, 7, v0
	v_cmp_lt_i32_e32 vcc, 5, v10
	v_cmp_eq_u32_e64 s[0:1], 3, v10
	v_cvt_f64_f32_e32 v[10:11], v4
	v_lshrrev_b32_e32 v0, 2, v0
	s_or_b64 vcc, s[0:1], vcc
	v_addc_co_u32_e32 v12, vcc, 0, v0, vcc
	v_mul_f64 v[10:11], v[10:11], s[2:3]
	v_mov_b32_e32 v0, 0x7c00
	v_cmp_gt_i32_e32 vcc, 31, v13
	v_cndmask_b32_e32 v4, v0, v12, vcc
	v_cmp_ne_u32_e32 vcc, 0, v8
	v_cndmask_b32_e64 v8, 0, 1, vcc
	v_lshl_or_b32 v8, v8, 9, v0
	v_cmp_eq_u32_e32 vcc, s10, v13
	v_cndmask_b32_e32 v4, v4, v8, vcc
	v_lshrrev_b32_e32 v8, 16, v9
	v_and_or_b32 v12, v8, s11, v4
	v_and_or_b32 v4, v11, s4, v10
	v_cmp_ne_u32_e32 vcc, 0, v4
	v_cndmask_b32_e64 v4, 0, 1, vcc
	v_lshrrev_b32_e32 v8, 8, v11
	v_bfe_u32 v9, v11, 20, 11
	v_and_or_b32 v4, v8, s5, v4
	v_sub_u32_e32 v10, 0x3f1, v9
	v_or_b32_e32 v8, 0x1000, v4
	v_med3_i32 v10, v10, 0, 13
	v_lshrrev_b32_e32 v13, v10, v8
	v_lshlrev_b32_e32 v10, v10, v13
	v_cmp_ne_u32_e32 vcc, v10, v8
	v_cndmask_b32_e64 v8, 0, 1, vcc
	v_add_u32_e32 v10, 0xfffffc10, v9
	v_or_b32_e32 v8, v13, v8
	v_lshl_or_b32 v9, v10, 12, v4
	v_cmp_gt_i32_e32 vcc, 1, v10
	v_cndmask_b32_e32 v8, v9, v8, vcc
	v_and_b32_e32 v9, 7, v8
	v_cmp_lt_i32_e32 vcc, 5, v9
	v_cmp_eq_u32_e64 s[0:1], 3, v9
	v_lshrrev_b32_e32 v8, 2, v8
	s_or_b64 vcc, s[0:1], vcc
	v_addc_co_u32_e32 v8, vcc, 0, v8, vcc
	v_cmp_gt_i32_e32 vcc, 31, v10
	v_cndmask_b32_e32 v13, v0, v8, vcc
	v_mad_u64_u32 v[8:9], s[0:1], s8, v49, 0
	v_cmp_ne_u32_e32 vcc, 0, v4
	v_cndmask_b32_e64 v4, 0, 1, vcc
	v_lshl_or_b32 v4, v4, 9, v0
	v_cmp_eq_u32_e32 vcc, s10, v10
	v_cndmask_b32_e32 v13, v13, v4, vcc
	v_mov_b32_e32 v4, v9
	v_mad_u64_u32 v[9:10], s[0:1], s9, v49, v[4:5]
	v_lshrrev_b32_e32 v4, 16, v5
	v_mul_f16_sdwa v10, v48, v4 dst_sel:DWORD dst_unused:UNUSED_PAD src0_sel:WORD_1 src1_sel:DWORD
	v_fma_f16 v10, v48, v5, v10
	v_cvt_f32_f16_e32 v10, v10
	v_lshrrev_b32_e32 v11, 16, v11
	v_and_or_b32 v13, v11, s11, v13
	v_and_b32_e32 v12, 0xffff, v12
	v_cvt_f64_f32_e32 v[10:11], v10
	v_lshl_or_b32 v12, v13, 16, v12
	v_mov_b32_e32 v13, s7
	v_add_co_u32_e32 v14, vcc, s6, v6
	v_mul_f64 v[10:11], v[10:11], s[2:3]
	v_addc_co_u32_e32 v13, vcc, v13, v7, vcc
	v_lshlrev_b64 v[6:7], 2, v[8:9]
	v_mul_f16_sdwa v5, v48, v5 dst_sel:DWORD dst_unused:UNUSED_PAD src0_sel:WORD_1 src1_sel:DWORD
	v_add_co_u32_e32 v6, vcc, v14, v6
	v_addc_co_u32_e32 v7, vcc, v13, v7, vcc
	v_and_or_b32 v8, v11, s4, v10
	v_cmp_ne_u32_e32 vcc, 0, v8
	v_fma_f16 v4, v48, v4, -v5
	v_cndmask_b32_e64 v8, 0, 1, vcc
	v_lshrrev_b32_e32 v9, 8, v11
	v_bfe_u32 v10, v11, 20, 11
	v_cvt_f32_f16_e32 v4, v4
	global_store_dword v[6:7], v12, off
	v_and_or_b32 v8, v9, s5, v8
	v_sub_u32_e32 v12, 0x3f1, v10
	v_or_b32_e32 v9, 0x1000, v8
	v_med3_i32 v12, v12, 0, 13
	v_lshrrev_b32_e32 v13, v12, v9
	v_lshlrev_b32_e32 v12, v12, v13
	v_cvt_f64_f32_e32 v[4:5], v4
	v_cmp_ne_u32_e32 vcc, v12, v9
	v_cndmask_b32_e64 v9, 0, 1, vcc
	v_add_u32_e32 v10, 0xfffffc10, v10
	v_or_b32_e32 v9, v13, v9
	v_lshl_or_b32 v12, v10, 12, v8
	v_cmp_gt_i32_e32 vcc, 1, v10
	v_cndmask_b32_e32 v9, v12, v9, vcc
	v_mul_f64 v[4:5], v[4:5], s[2:3]
	v_and_b32_e32 v12, 7, v9
	v_cmp_lt_i32_e32 vcc, 5, v12
	v_cmp_eq_u32_e64 s[0:1], 3, v12
	v_lshrrev_b32_e32 v9, 2, v9
	s_or_b64 vcc, s[0:1], vcc
	v_addc_co_u32_e32 v9, vcc, 0, v9, vcc
	v_cmp_gt_i32_e32 vcc, 31, v10
	v_cndmask_b32_e32 v9, v0, v9, vcc
	v_cmp_ne_u32_e32 vcc, 0, v8
	v_cndmask_b32_e64 v8, 0, 1, vcc
	v_lshl_or_b32 v8, v8, 9, v0
	v_cmp_eq_u32_e32 vcc, s10, v10
	v_and_or_b32 v4, v5, s4, v4
	v_cndmask_b32_e32 v8, v9, v8, vcc
	v_lshrrev_b32_e32 v9, 16, v11
	v_cmp_ne_u32_e32 vcc, 0, v4
	v_and_or_b32 v10, v9, s11, v8
	v_cndmask_b32_e64 v4, 0, 1, vcc
	v_lshrrev_b32_e32 v8, 8, v5
	v_bfe_u32 v9, v5, 20, 11
	v_and_or_b32 v4, v8, s5, v4
	v_sub_u32_e32 v11, 0x3f1, v9
	v_or_b32_e32 v8, 0x1000, v4
	v_med3_i32 v11, v11, 0, 13
	v_lshrrev_b32_e32 v12, v11, v8
	v_lshlrev_b32_e32 v11, v11, v12
	v_cmp_ne_u32_e32 vcc, v11, v8
	v_cndmask_b32_e64 v8, 0, 1, vcc
	v_add_u32_e32 v11, 0xfffffc10, v9
	v_or_b32_e32 v8, v12, v8
	v_lshl_or_b32 v9, v11, 12, v4
	v_cmp_gt_i32_e32 vcc, 1, v11
	v_cndmask_b32_e32 v8, v9, v8, vcc
	v_and_b32_e32 v9, 7, v8
	v_cmp_lt_i32_e32 vcc, 5, v9
	v_cmp_eq_u32_e64 s[0:1], 3, v9
	v_lshrrev_b32_e32 v8, 2, v8
	s_or_b64 vcc, s[0:1], vcc
	v_addc_co_u32_e32 v8, vcc, 0, v8, vcc
	v_cmp_gt_i32_e32 vcc, 31, v11
	v_cndmask_b32_e32 v12, v0, v8, vcc
	ds_read2_b32 v[8:9], v15 offset0:44 offset1:226
	v_cmp_ne_u32_e32 vcc, 0, v4
	v_cndmask_b32_e64 v4, 0, 1, vcc
	v_lshl_or_b32 v4, v4, 9, v0
	v_cmp_eq_u32_e32 vcc, s10, v11
	s_waitcnt lgkmcnt(0)
	v_lshrrev_b32_e32 v11, 16, v8
	v_cndmask_b32_e32 v4, v12, v4, vcc
	v_mul_f16_sdwa v12, v47, v11 dst_sel:DWORD dst_unused:UNUSED_PAD src0_sel:WORD_1 src1_sel:DWORD
	v_fma_f16 v12, v47, v8, v12
	v_cvt_f32_f16_e32 v12, v12
	v_lshrrev_b32_e32 v5, 16, v5
	v_and_or_b32 v4, v5, s11, v4
	v_and_b32_e32 v5, 0xffff, v10
	v_lshl_or_b32 v10, v4, 16, v5
	v_cvt_f64_f32_e32 v[4:5], v12
	s_mul_i32 s0, s9, 0x2d8
	s_mul_hi_u32 s6, s8, 0x2d8
	s_add_i32 s6, s6, s0
	v_mul_f64 v[4:5], v[4:5], s[2:3]
	s_mul_i32 s7, s8, 0x2d8
	v_mov_b32_e32 v12, s6
	v_add_co_u32_e32 v6, vcc, s7, v6
	v_addc_co_u32_e32 v7, vcc, v7, v12, vcc
	global_store_dword v[6:7], v10, off
	v_and_or_b32 v4, v5, s4, v4
	v_cmp_ne_u32_e32 vcc, 0, v4
	v_cndmask_b32_e64 v4, 0, 1, vcc
	v_lshrrev_b32_e32 v10, 8, v5
	v_bfe_u32 v12, v5, 20, 11
	v_and_or_b32 v4, v10, s5, v4
	v_sub_u32_e32 v13, 0x3f1, v12
	v_or_b32_e32 v10, 0x1000, v4
	v_med3_i32 v13, v13, 0, 13
	v_lshrrev_b32_e32 v14, v13, v10
	v_lshlrev_b32_e32 v13, v13, v14
	v_mul_f16_sdwa v8, v47, v8 dst_sel:DWORD dst_unused:UNUSED_PAD src0_sel:WORD_1 src1_sel:DWORD
	v_cmp_ne_u32_e32 vcc, v13, v10
	v_fma_f16 v8, v47, v11, -v8
	v_cndmask_b32_e64 v10, 0, 1, vcc
	v_add_u32_e32 v12, 0xfffffc10, v12
	v_cvt_f32_f16_e32 v8, v8
	v_or_b32_e32 v10, v14, v10
	v_lshl_or_b32 v13, v12, 12, v4
	v_cmp_gt_i32_e32 vcc, 1, v12
	v_cndmask_b32_e32 v10, v13, v10, vcc
	v_and_b32_e32 v13, 7, v10
	v_cmp_lt_i32_e32 vcc, 5, v13
	v_cmp_eq_u32_e64 s[0:1], 3, v13
	v_lshrrev_b32_e32 v13, 2, v10
	v_cvt_f64_f32_e32 v[10:11], v8
	s_or_b64 vcc, s[0:1], vcc
	v_addc_co_u32_e32 v8, vcc, 0, v13, vcc
	v_mul_f64 v[10:11], v[10:11], s[2:3]
	v_cmp_gt_i32_e32 vcc, 31, v12
	v_cndmask_b32_e32 v8, v0, v8, vcc
	v_cmp_ne_u32_e32 vcc, 0, v4
	v_cndmask_b32_e64 v4, 0, 1, vcc
	v_lshl_or_b32 v4, v4, 9, v0
	v_cmp_eq_u32_e32 vcc, s10, v12
	v_cndmask_b32_e32 v4, v8, v4, vcc
	v_lshrrev_b32_e32 v5, 16, v5
	v_and_or_b32 v8, v5, s11, v4
	v_and_or_b32 v4, v11, s4, v10
	v_cmp_ne_u32_e32 vcc, 0, v4
	v_cndmask_b32_e64 v4, 0, 1, vcc
	v_lshrrev_b32_e32 v5, 8, v11
	v_bfe_u32 v10, v11, 20, 11
	v_and_or_b32 v4, v5, s5, v4
	v_sub_u32_e32 v12, 0x3f1, v10
	v_or_b32_e32 v5, 0x1000, v4
	v_med3_i32 v12, v12, 0, 13
	v_lshrrev_b32_e32 v13, v12, v5
	v_lshlrev_b32_e32 v12, v12, v13
	v_cmp_ne_u32_e32 vcc, v12, v5
	v_cndmask_b32_e64 v5, 0, 1, vcc
	v_add_u32_e32 v10, 0xfffffc10, v10
	v_or_b32_e32 v5, v13, v5
	v_lshl_or_b32 v12, v10, 12, v4
	v_cmp_gt_i32_e32 vcc, 1, v10
	v_cndmask_b32_e32 v5, v12, v5, vcc
	v_and_b32_e32 v12, 7, v5
	v_cmp_lt_i32_e32 vcc, 5, v12
	v_cmp_eq_u32_e64 s[0:1], 3, v12
	v_lshrrev_b32_e32 v12, 16, v9
	v_lshrrev_b32_e32 v5, 2, v5
	s_or_b64 vcc, s[0:1], vcc
	v_mul_f16_sdwa v13, v46, v12 dst_sel:DWORD dst_unused:UNUSED_PAD src0_sel:WORD_1 src1_sel:DWORD
	v_addc_co_u32_e32 v5, vcc, 0, v5, vcc
	v_fma_f16 v13, v46, v9, v13
	v_cmp_gt_i32_e32 vcc, 31, v10
	v_cvt_f32_f16_e32 v13, v13
	v_cndmask_b32_e32 v5, v0, v5, vcc
	v_cmp_ne_u32_e32 vcc, 0, v4
	v_cndmask_b32_e64 v4, 0, 1, vcc
	v_lshl_or_b32 v4, v4, 9, v0
	v_cmp_eq_u32_e32 vcc, s10, v10
	v_cndmask_b32_e32 v10, v5, v4, vcc
	v_cvt_f64_f32_e32 v[4:5], v13
	v_lshrrev_b32_e32 v11, 16, v11
	v_and_or_b32 v10, v11, s11, v10
	v_and_b32_e32 v8, 0xffff, v8
	v_mul_f64 v[4:5], v[4:5], s[2:3]
	v_lshl_or_b32 v8, v10, 16, v8
	v_mov_b32_e32 v10, s6
	v_add_co_u32_e32 v6, vcc, s7, v6
	v_addc_co_u32_e32 v7, vcc, v7, v10, vcc
	global_store_dword v[6:7], v8, off
	v_and_or_b32 v4, v5, s4, v4
	v_cmp_ne_u32_e32 vcc, 0, v4
	v_cndmask_b32_e64 v4, 0, 1, vcc
	v_lshrrev_b32_e32 v8, 8, v5
	v_bfe_u32 v10, v5, 20, 11
	v_and_or_b32 v4, v8, s5, v4
	v_sub_u32_e32 v11, 0x3f1, v10
	v_or_b32_e32 v8, 0x1000, v4
	v_med3_i32 v11, v11, 0, 13
	v_lshrrev_b32_e32 v13, v11, v8
	v_lshlrev_b32_e32 v11, v11, v13
	v_mul_f16_sdwa v9, v46, v9 dst_sel:DWORD dst_unused:UNUSED_PAD src0_sel:WORD_1 src1_sel:DWORD
	v_cmp_ne_u32_e32 vcc, v11, v8
	v_fma_f16 v9, v46, v12, -v9
	v_cndmask_b32_e64 v8, 0, 1, vcc
	v_add_u32_e32 v10, 0xfffffc10, v10
	v_cvt_f32_f16_e32 v9, v9
	v_or_b32_e32 v8, v13, v8
	v_lshl_or_b32 v11, v10, 12, v4
	v_cmp_gt_i32_e32 vcc, 1, v10
	v_cndmask_b32_e32 v8, v11, v8, vcc
	v_and_b32_e32 v11, 7, v8
	v_cmp_lt_i32_e32 vcc, 5, v11
	v_cmp_eq_u32_e64 s[0:1], 3, v11
	v_lshrrev_b32_e32 v11, 2, v8
	v_cvt_f64_f32_e32 v[8:9], v9
	s_or_b64 vcc, s[0:1], vcc
	v_addc_co_u32_e32 v11, vcc, 0, v11, vcc
	v_mul_f64 v[8:9], v[8:9], s[2:3]
	v_cmp_gt_i32_e32 vcc, 31, v10
	v_cndmask_b32_e32 v11, v0, v11, vcc
	v_cmp_ne_u32_e32 vcc, 0, v4
	v_cndmask_b32_e64 v4, 0, 1, vcc
	v_lshl_or_b32 v4, v4, 9, v0
	v_cmp_eq_u32_e32 vcc, s10, v10
	v_cndmask_b32_e32 v4, v11, v4, vcc
	v_lshrrev_b32_e32 v5, 16, v5
	v_and_or_b32 v5, v5, s11, v4
	v_and_or_b32 v4, v9, s4, v8
	v_cmp_ne_u32_e32 vcc, 0, v4
	v_cndmask_b32_e64 v4, 0, 1, vcc
	v_lshrrev_b32_e32 v8, 8, v9
	v_bfe_u32 v10, v9, 20, 11
	v_and_or_b32 v8, v8, s5, v4
	v_sub_u32_e32 v11, 0x3f1, v10
	v_or_b32_e32 v4, 0x1000, v8
	v_med3_i32 v11, v11, 0, 13
	v_lshrrev_b32_e32 v12, v11, v4
	v_lshlrev_b32_e32 v11, v11, v12
	v_cmp_ne_u32_e32 vcc, v11, v4
	v_cndmask_b32_e64 v4, 0, 1, vcc
	v_add_u32_e32 v10, 0xfffffc10, v10
	v_or_b32_e32 v4, v12, v4
	v_lshl_or_b32 v11, v10, 12, v8
	v_cmp_gt_i32_e32 vcc, 1, v10
	v_cndmask_b32_e32 v4, v11, v4, vcc
	v_and_b32_e32 v11, 7, v4
	v_cmp_lt_i32_e32 vcc, 5, v11
	v_cmp_eq_u32_e64 s[0:1], 3, v11
	v_lshrrev_b32_e32 v4, 2, v4
	s_or_b64 vcc, s[0:1], vcc
	v_addc_co_u32_e32 v11, vcc, 0, v4, vcc
	ds_read2_b32 v[3:4], v3 offset0:24 offset1:206
	v_cmp_gt_i32_e32 vcc, 31, v10
	v_cndmask_b32_e32 v11, v0, v11, vcc
	v_cmp_ne_u32_e32 vcc, 0, v8
	v_cndmask_b32_e64 v8, 0, 1, vcc
	s_waitcnt lgkmcnt(0)
	v_lshrrev_b32_e32 v12, 16, v3
	v_mul_f16_sdwa v13, v45, v12 dst_sel:DWORD dst_unused:UNUSED_PAD src0_sel:WORD_1 src1_sel:DWORD
	v_fma_f16 v13, v45, v3, v13
	v_cvt_f32_f16_e32 v13, v13
	v_lshl_or_b32 v8, v8, 9, v0
	v_cmp_eq_u32_e32 vcc, s10, v10
	v_cndmask_b32_e32 v8, v11, v8, vcc
	v_cvt_f64_f32_e32 v[10:11], v13
	v_lshrrev_b32_e32 v9, 16, v9
	v_and_or_b32 v13, v9, s11, v8
	v_and_b32_e32 v5, 0xffff, v5
	v_mul_f64 v[8:9], v[10:11], s[2:3]
	v_lshl_or_b32 v10, v13, 16, v5
	v_mov_b32_e32 v11, s6
	v_add_co_u32_e32 v5, vcc, s7, v6
	v_addc_co_u32_e32 v6, vcc, v7, v11, vcc
	global_store_dword v[5:6], v10, off
	v_and_or_b32 v7, v9, s4, v8
	v_cmp_ne_u32_e32 vcc, 0, v7
	v_cndmask_b32_e64 v7, 0, 1, vcc
	v_lshrrev_b32_e32 v8, 8, v9
	v_and_or_b32 v10, v8, s5, v7
	v_bfe_u32 v8, v9, 20, 11
	v_sub_u32_e32 v11, 0x3f1, v8
	v_or_b32_e32 v7, 0x1000, v10
	v_med3_i32 v11, v11, 0, 13
	v_lshrrev_b32_e32 v13, v11, v7
	v_lshlrev_b32_e32 v11, v11, v13
	v_mul_f16_sdwa v3, v45, v3 dst_sel:DWORD dst_unused:UNUSED_PAD src0_sel:WORD_1 src1_sel:DWORD
	v_cmp_ne_u32_e32 vcc, v11, v7
	v_fma_f16 v3, v45, v12, -v3
	v_cndmask_b32_e64 v7, 0, 1, vcc
	v_add_u32_e32 v11, 0xfffffc10, v8
	v_cvt_f32_f16_e32 v3, v3
	v_or_b32_e32 v7, v13, v7
	v_lshl_or_b32 v8, v11, 12, v10
	v_cmp_gt_i32_e32 vcc, 1, v11
	v_cndmask_b32_e32 v7, v8, v7, vcc
	v_and_b32_e32 v8, 7, v7
	v_cmp_lt_i32_e32 vcc, 5, v8
	v_cmp_eq_u32_e64 s[0:1], 3, v8
	v_lshrrev_b32_e32 v12, 2, v7
	v_cvt_f64_f32_e32 v[7:8], v3
	s_or_b64 vcc, s[0:1], vcc
	v_addc_co_u32_e32 v3, vcc, 0, v12, vcc
	v_mul_f64 v[7:8], v[7:8], s[2:3]
	v_cmp_gt_i32_e32 vcc, 31, v11
	v_cndmask_b32_e32 v3, v0, v3, vcc
	v_cmp_ne_u32_e32 vcc, 0, v10
	v_cndmask_b32_e64 v10, 0, 1, vcc
	v_lshl_or_b32 v10, v10, 9, v0
	v_cmp_eq_u32_e32 vcc, s10, v11
	v_cndmask_b32_e32 v3, v3, v10, vcc
	v_and_or_b32 v7, v8, s4, v7
	v_lshrrev_b32_e32 v9, 16, v9
	v_cmp_ne_u32_e32 vcc, 0, v7
	v_and_or_b32 v3, v9, s11, v3
	v_cndmask_b32_e64 v7, 0, 1, vcc
	v_lshrrev_b32_e32 v9, 8, v8
	v_bfe_u32 v10, v8, 20, 11
	v_and_or_b32 v7, v9, s5, v7
	v_sub_u32_e32 v11, 0x3f1, v10
	v_or_b32_e32 v9, 0x1000, v7
	v_med3_i32 v11, v11, 0, 13
	v_lshrrev_b32_e32 v12, v11, v9
	v_lshlrev_b32_e32 v11, v11, v12
	v_cmp_ne_u32_e32 vcc, v11, v9
	v_cndmask_b32_e64 v9, 0, 1, vcc
	v_add_u32_e32 v10, 0xfffffc10, v10
	v_or_b32_e32 v9, v12, v9
	v_lshl_or_b32 v11, v10, 12, v7
	v_cmp_gt_i32_e32 vcc, 1, v10
	v_cndmask_b32_e32 v9, v11, v9, vcc
	v_and_b32_e32 v11, 7, v9
	v_cmp_lt_i32_e32 vcc, 5, v11
	v_cmp_eq_u32_e64 s[0:1], 3, v11
	v_lshrrev_b32_e32 v11, 16, v4
	v_lshrrev_b32_e32 v9, 2, v9
	s_or_b64 vcc, s[0:1], vcc
	v_mul_f16_sdwa v12, v44, v11 dst_sel:DWORD dst_unused:UNUSED_PAD src0_sel:WORD_1 src1_sel:DWORD
	v_addc_co_u32_e32 v9, vcc, 0, v9, vcc
	v_fma_f16 v12, v44, v4, v12
	v_cmp_gt_i32_e32 vcc, 31, v10
	v_cvt_f32_f16_e32 v12, v12
	v_cndmask_b32_e32 v9, v0, v9, vcc
	v_cmp_ne_u32_e32 vcc, 0, v7
	v_cndmask_b32_e64 v7, 0, 1, vcc
	v_lshl_or_b32 v7, v7, 9, v0
	v_cmp_eq_u32_e32 vcc, s10, v10
	v_cndmask_b32_e32 v7, v9, v7, vcc
	v_cvt_f64_f32_e32 v[9:10], v12
	v_lshrrev_b32_e32 v8, 16, v8
	v_and_or_b32 v12, v8, s11, v7
	v_and_b32_e32 v3, 0xffff, v3
	v_mul_f64 v[7:8], v[9:10], s[2:3]
	v_mov_b32_e32 v9, s6
	v_add_co_u32_e32 v5, vcc, s7, v5
	v_lshl_or_b32 v3, v12, 16, v3
	v_addc_co_u32_e32 v6, vcc, v6, v9, vcc
	global_store_dword v[5:6], v3, off
	v_and_or_b32 v3, v8, s4, v7
	v_cmp_ne_u32_e32 vcc, 0, v3
	v_cndmask_b32_e64 v3, 0, 1, vcc
	v_lshrrev_b32_e32 v7, 8, v8
	v_bfe_u32 v9, v8, 20, 11
	v_and_or_b32 v7, v7, s5, v3
	v_sub_u32_e32 v10, 0x3f1, v9
	v_or_b32_e32 v3, 0x1000, v7
	v_med3_i32 v10, v10, 0, 13
	v_lshrrev_b32_e32 v12, v10, v3
	v_lshlrev_b32_e32 v10, v10, v12
	v_mul_f16_sdwa v4, v44, v4 dst_sel:DWORD dst_unused:UNUSED_PAD src0_sel:WORD_1 src1_sel:DWORD
	v_cmp_ne_u32_e32 vcc, v10, v3
	v_fma_f16 v4, v44, v11, -v4
	v_cndmask_b32_e64 v3, 0, 1, vcc
	v_add_u32_e32 v9, 0xfffffc10, v9
	v_cvt_f32_f16_e32 v4, v4
	v_or_b32_e32 v3, v12, v3
	v_lshl_or_b32 v10, v9, 12, v7
	v_cmp_gt_i32_e32 vcc, 1, v9
	v_cndmask_b32_e32 v3, v10, v3, vcc
	v_and_b32_e32 v10, 7, v3
	v_cmp_lt_i32_e32 vcc, 5, v10
	v_cmp_eq_u32_e64 s[0:1], 3, v10
	v_lshrrev_b32_e32 v10, 2, v3
	v_cvt_f64_f32_e32 v[3:4], v4
	s_or_b64 vcc, s[0:1], vcc
	v_addc_co_u32_e32 v10, vcc, 0, v10, vcc
	v_mul_f64 v[3:4], v[3:4], s[2:3]
	v_cmp_gt_i32_e32 vcc, 31, v9
	v_cndmask_b32_e32 v10, v0, v10, vcc
	v_cmp_ne_u32_e32 vcc, 0, v7
	v_cndmask_b32_e64 v7, 0, 1, vcc
	v_lshl_or_b32 v7, v7, 9, v0
	v_cmp_eq_u32_e32 vcc, s10, v9
	v_cndmask_b32_e32 v7, v10, v7, vcc
	v_and_or_b32 v3, v4, s4, v3
	v_lshrrev_b32_e32 v8, 16, v8
	v_cmp_ne_u32_e32 vcc, 0, v3
	v_and_or_b32 v9, v8, s11, v7
	v_cndmask_b32_e64 v3, 0, 1, vcc
	v_lshrrev_b32_e32 v7, 8, v4
	v_bfe_u32 v8, v4, 20, 11
	v_and_or_b32 v7, v7, s5, v3
	v_sub_u32_e32 v10, 0x3f1, v8
	v_or_b32_e32 v3, 0x1000, v7
	v_med3_i32 v10, v10, 0, 13
	v_lshrrev_b32_e32 v11, v10, v3
	v_lshlrev_b32_e32 v10, v10, v11
	v_cmp_ne_u32_e32 vcc, v10, v3
	v_cndmask_b32_e64 v3, 0, 1, vcc
	v_add_u32_e32 v8, 0xfffffc10, v8
	v_or_b32_e32 v3, v11, v3
	v_lshl_or_b32 v10, v8, 12, v7
	v_cmp_gt_i32_e32 vcc, 1, v8
	v_cndmask_b32_e32 v3, v10, v3, vcc
	v_and_b32_e32 v10, 7, v3
	v_cmp_lt_i32_e32 vcc, 5, v10
	v_cmp_eq_u32_e64 s[0:1], 3, v10
	v_lshrrev_b32_e32 v3, 2, v3
	s_or_b64 vcc, s[0:1], vcc
	v_addc_co_u32_e32 v10, vcc, 0, v3, vcc
	ds_read2_b32 v[2:3], v2 offset0:68 offset1:250
	v_cmp_gt_i32_e32 vcc, 31, v8
	v_cndmask_b32_e32 v10, v0, v10, vcc
	v_cmp_ne_u32_e32 vcc, 0, v7
	v_cndmask_b32_e64 v7, 0, 1, vcc
	s_waitcnt lgkmcnt(0)
	v_lshrrev_b32_e32 v11, 16, v2
	v_mul_f16_sdwa v12, v43, v11 dst_sel:DWORD dst_unused:UNUSED_PAD src0_sel:WORD_1 src1_sel:DWORD
	v_fma_f16 v12, v43, v2, v12
	v_cvt_f32_f16_e32 v12, v12
	v_lshl_or_b32 v7, v7, 9, v0
	v_cmp_eq_u32_e32 vcc, s10, v8
	v_cndmask_b32_e32 v10, v10, v7, vcc
	v_cvt_f64_f32_e32 v[7:8], v12
	v_lshrrev_b32_e32 v4, 16, v4
	v_and_or_b32 v4, v4, s11, v10
	v_and_b32_e32 v9, 0xffff, v9
	v_mul_f64 v[7:8], v[7:8], s[2:3]
	v_lshl_or_b32 v9, v4, 16, v9
	v_mov_b32_e32 v10, s6
	v_add_co_u32_e32 v4, vcc, s7, v5
	v_addc_co_u32_e32 v5, vcc, v6, v10, vcc
	global_store_dword v[4:5], v9, off
	v_and_or_b32 v6, v8, s4, v7
	v_cmp_ne_u32_e32 vcc, 0, v6
	v_cndmask_b32_e64 v6, 0, 1, vcc
	v_lshrrev_b32_e32 v7, 8, v8
	v_and_or_b32 v9, v7, s5, v6
	v_bfe_u32 v7, v8, 20, 11
	v_sub_u32_e32 v10, 0x3f1, v7
	v_or_b32_e32 v6, 0x1000, v9
	v_med3_i32 v10, v10, 0, 13
	v_lshrrev_b32_e32 v12, v10, v6
	v_lshlrev_b32_e32 v10, v10, v12
	v_mul_f16_sdwa v2, v43, v2 dst_sel:DWORD dst_unused:UNUSED_PAD src0_sel:WORD_1 src1_sel:DWORD
	v_cmp_ne_u32_e32 vcc, v10, v6
	v_fma_f16 v2, v43, v11, -v2
	v_cndmask_b32_e64 v6, 0, 1, vcc
	v_add_u32_e32 v10, 0xfffffc10, v7
	v_cvt_f32_f16_e32 v2, v2
	v_or_b32_e32 v6, v12, v6
	v_lshl_or_b32 v7, v10, 12, v9
	v_cmp_gt_i32_e32 vcc, 1, v10
	v_cndmask_b32_e32 v6, v7, v6, vcc
	v_and_b32_e32 v7, 7, v6
	v_cmp_lt_i32_e32 vcc, 5, v7
	v_cmp_eq_u32_e64 s[0:1], 3, v7
	v_lshrrev_b32_e32 v11, 2, v6
	v_cvt_f64_f32_e32 v[6:7], v2
	s_or_b64 vcc, s[0:1], vcc
	v_addc_co_u32_e32 v2, vcc, 0, v11, vcc
	v_mul_f64 v[6:7], v[6:7], s[2:3]
	v_cmp_gt_i32_e32 vcc, 31, v10
	v_cndmask_b32_e32 v2, v0, v2, vcc
	v_cmp_ne_u32_e32 vcc, 0, v9
	v_cndmask_b32_e64 v9, 0, 1, vcc
	v_lshl_or_b32 v9, v9, 9, v0
	v_cmp_eq_u32_e32 vcc, s10, v10
	v_cndmask_b32_e32 v2, v2, v9, vcc
	v_and_or_b32 v6, v7, s4, v6
	v_lshrrev_b32_e32 v8, 16, v8
	v_cmp_ne_u32_e32 vcc, 0, v6
	v_and_or_b32 v2, v8, s11, v2
	v_cndmask_b32_e64 v6, 0, 1, vcc
	v_lshrrev_b32_e32 v8, 8, v7
	v_bfe_u32 v9, v7, 20, 11
	v_and_or_b32 v6, v8, s5, v6
	v_sub_u32_e32 v10, 0x3f1, v9
	v_or_b32_e32 v8, 0x1000, v6
	v_med3_i32 v10, v10, 0, 13
	v_lshrrev_b32_e32 v11, v10, v8
	v_lshlrev_b32_e32 v10, v10, v11
	v_cmp_ne_u32_e32 vcc, v10, v8
	v_cndmask_b32_e64 v8, 0, 1, vcc
	v_add_u32_e32 v9, 0xfffffc10, v9
	v_or_b32_e32 v8, v11, v8
	v_lshl_or_b32 v10, v9, 12, v6
	v_cmp_gt_i32_e32 vcc, 1, v9
	v_cndmask_b32_e32 v8, v10, v8, vcc
	v_and_b32_e32 v10, 7, v8
	v_cmp_lt_i32_e32 vcc, 5, v10
	v_cmp_eq_u32_e64 s[0:1], 3, v10
	v_lshrrev_b32_e32 v10, 16, v3
	v_lshrrev_b32_e32 v8, 2, v8
	s_or_b64 vcc, s[0:1], vcc
	v_mul_f16_sdwa v11, v42, v10 dst_sel:DWORD dst_unused:UNUSED_PAD src0_sel:WORD_1 src1_sel:DWORD
	v_addc_co_u32_e32 v8, vcc, 0, v8, vcc
	v_fma_f16 v11, v42, v3, v11
	v_cmp_gt_i32_e32 vcc, 31, v9
	v_cvt_f32_f16_e32 v11, v11
	v_cndmask_b32_e32 v8, v0, v8, vcc
	v_cmp_ne_u32_e32 vcc, 0, v6
	v_cndmask_b32_e64 v6, 0, 1, vcc
	v_lshl_or_b32 v6, v6, 9, v0
	v_cmp_eq_u32_e32 vcc, s10, v9
	v_cndmask_b32_e32 v6, v8, v6, vcc
	v_cvt_f64_f32_e32 v[8:9], v11
	v_lshrrev_b32_e32 v7, 16, v7
	v_and_or_b32 v11, v7, s11, v6
	v_and_b32_e32 v2, 0xffff, v2
	v_mul_f64 v[6:7], v[8:9], s[2:3]
	v_mov_b32_e32 v8, s6
	v_add_co_u32_e32 v4, vcc, s7, v4
	v_lshl_or_b32 v2, v11, 16, v2
	v_addc_co_u32_e32 v5, vcc, v5, v8, vcc
	global_store_dword v[4:5], v2, off
	v_and_or_b32 v2, v7, s4, v6
	v_cmp_ne_u32_e32 vcc, 0, v2
	v_cndmask_b32_e64 v2, 0, 1, vcc
	v_lshrrev_b32_e32 v6, 8, v7
	v_bfe_u32 v8, v7, 20, 11
	v_and_or_b32 v6, v6, s5, v2
	v_sub_u32_e32 v9, 0x3f1, v8
	v_or_b32_e32 v2, 0x1000, v6
	v_med3_i32 v9, v9, 0, 13
	v_lshrrev_b32_e32 v11, v9, v2
	v_lshlrev_b32_e32 v9, v9, v11
	v_mul_f16_sdwa v3, v42, v3 dst_sel:DWORD dst_unused:UNUSED_PAD src0_sel:WORD_1 src1_sel:DWORD
	v_cmp_ne_u32_e32 vcc, v9, v2
	v_fma_f16 v3, v42, v10, -v3
	v_cndmask_b32_e64 v2, 0, 1, vcc
	v_add_u32_e32 v8, 0xfffffc10, v8
	v_cvt_f32_f16_e32 v3, v3
	v_or_b32_e32 v2, v11, v2
	v_lshl_or_b32 v9, v8, 12, v6
	v_cmp_gt_i32_e32 vcc, 1, v8
	v_cndmask_b32_e32 v2, v9, v2, vcc
	v_and_b32_e32 v9, 7, v2
	v_cmp_lt_i32_e32 vcc, 5, v9
	v_cmp_eq_u32_e64 s[0:1], 3, v9
	v_lshrrev_b32_e32 v9, 2, v2
	v_cvt_f64_f32_e32 v[2:3], v3
	s_or_b64 vcc, s[0:1], vcc
	v_addc_co_u32_e32 v9, vcc, 0, v9, vcc
	v_mul_f64 v[2:3], v[2:3], s[2:3]
	v_cmp_gt_i32_e32 vcc, 31, v8
	v_cndmask_b32_e32 v9, v0, v9, vcc
	v_cmp_ne_u32_e32 vcc, 0, v6
	v_cndmask_b32_e64 v6, 0, 1, vcc
	v_lshl_or_b32 v6, v6, 9, v0
	v_cmp_eq_u32_e32 vcc, s10, v8
	v_cndmask_b32_e32 v6, v9, v6, vcc
	v_and_or_b32 v2, v3, s4, v2
	v_lshrrev_b32_e32 v7, 16, v7
	v_cmp_ne_u32_e32 vcc, 0, v2
	v_and_or_b32 v8, v7, s11, v6
	v_cndmask_b32_e64 v2, 0, 1, vcc
	v_lshrrev_b32_e32 v6, 8, v3
	v_bfe_u32 v7, v3, 20, 11
	v_and_or_b32 v6, v6, s5, v2
	v_sub_u32_e32 v9, 0x3f1, v7
	v_or_b32_e32 v2, 0x1000, v6
	v_med3_i32 v9, v9, 0, 13
	v_lshrrev_b32_e32 v10, v9, v2
	v_lshlrev_b32_e32 v9, v9, v10
	v_cmp_ne_u32_e32 vcc, v9, v2
	v_cndmask_b32_e64 v2, 0, 1, vcc
	v_add_u32_e32 v7, 0xfffffc10, v7
	v_or_b32_e32 v2, v10, v2
	v_lshl_or_b32 v9, v7, 12, v6
	v_cmp_gt_i32_e32 vcc, 1, v7
	v_cndmask_b32_e32 v2, v9, v2, vcc
	v_and_b32_e32 v9, 7, v2
	v_cmp_lt_i32_e32 vcc, 5, v9
	v_cmp_eq_u32_e64 s[0:1], 3, v9
	v_lshrrev_b32_e32 v2, 2, v2
	s_or_b64 vcc, s[0:1], vcc
	v_addc_co_u32_e32 v9, vcc, 0, v2, vcc
	ds_read2_b32 v[1:2], v1 offset0:48 offset1:230
	v_cmp_gt_i32_e32 vcc, 31, v7
	v_cndmask_b32_e32 v9, v0, v9, vcc
	v_cmp_ne_u32_e32 vcc, 0, v6
	v_cndmask_b32_e64 v6, 0, 1, vcc
	s_waitcnt lgkmcnt(0)
	v_lshrrev_b32_e32 v10, 16, v1
	v_mul_f16_sdwa v11, v41, v10 dst_sel:DWORD dst_unused:UNUSED_PAD src0_sel:WORD_1 src1_sel:DWORD
	v_fma_f16 v11, v41, v1, v11
	v_cvt_f32_f16_e32 v11, v11
	v_lshl_or_b32 v6, v6, 9, v0
	v_cmp_eq_u32_e32 vcc, s10, v7
	v_cndmask_b32_e32 v9, v9, v6, vcc
	v_cvt_f64_f32_e32 v[6:7], v11
	v_lshrrev_b32_e32 v3, 16, v3
	v_and_or_b32 v3, v3, s11, v9
	v_and_b32_e32 v8, 0xffff, v8
	v_mul_f64 v[6:7], v[6:7], s[2:3]
	v_lshl_or_b32 v8, v3, 16, v8
	v_mov_b32_e32 v9, s6
	v_add_co_u32_e32 v3, vcc, s7, v4
	v_addc_co_u32_e32 v4, vcc, v5, v9, vcc
	global_store_dword v[3:4], v8, off
	v_and_or_b32 v5, v7, s4, v6
	v_cmp_ne_u32_e32 vcc, 0, v5
	v_cndmask_b32_e64 v5, 0, 1, vcc
	v_lshrrev_b32_e32 v6, 8, v7
	v_and_or_b32 v8, v6, s5, v5
	v_bfe_u32 v6, v7, 20, 11
	v_sub_u32_e32 v9, 0x3f1, v6
	v_or_b32_e32 v5, 0x1000, v8
	v_med3_i32 v9, v9, 0, 13
	v_lshrrev_b32_e32 v11, v9, v5
	v_lshlrev_b32_e32 v9, v9, v11
	v_mul_f16_sdwa v1, v41, v1 dst_sel:DWORD dst_unused:UNUSED_PAD src0_sel:WORD_1 src1_sel:DWORD
	v_cmp_ne_u32_e32 vcc, v9, v5
	v_fma_f16 v1, v41, v10, -v1
	v_cndmask_b32_e64 v5, 0, 1, vcc
	v_add_u32_e32 v9, 0xfffffc10, v6
	v_cvt_f32_f16_e32 v1, v1
	v_or_b32_e32 v5, v11, v5
	v_lshl_or_b32 v6, v9, 12, v8
	v_cmp_gt_i32_e32 vcc, 1, v9
	v_cndmask_b32_e32 v5, v6, v5, vcc
	v_and_b32_e32 v6, 7, v5
	v_cmp_lt_i32_e32 vcc, 5, v6
	v_cmp_eq_u32_e64 s[0:1], 3, v6
	v_lshrrev_b32_e32 v10, 2, v5
	v_cvt_f64_f32_e32 v[5:6], v1
	s_or_b64 vcc, s[0:1], vcc
	v_addc_co_u32_e32 v1, vcc, 0, v10, vcc
	v_mul_f64 v[5:6], v[5:6], s[2:3]
	v_cmp_gt_i32_e32 vcc, 31, v9
	v_cndmask_b32_e32 v1, v0, v1, vcc
	v_cmp_ne_u32_e32 vcc, 0, v8
	v_cndmask_b32_e64 v8, 0, 1, vcc
	v_lshl_or_b32 v8, v8, 9, v0
	v_cmp_eq_u32_e32 vcc, s10, v9
	v_cndmask_b32_e32 v1, v1, v8, vcc
	v_and_or_b32 v5, v6, s4, v5
	v_lshrrev_b32_e32 v7, 16, v7
	v_cmp_ne_u32_e32 vcc, 0, v5
	v_and_or_b32 v1, v7, s11, v1
	v_cndmask_b32_e64 v5, 0, 1, vcc
	v_lshrrev_b32_e32 v7, 8, v6
	v_bfe_u32 v8, v6, 20, 11
	v_and_or_b32 v5, v7, s5, v5
	v_sub_u32_e32 v9, 0x3f1, v8
	v_or_b32_e32 v7, 0x1000, v5
	v_med3_i32 v9, v9, 0, 13
	v_lshrrev_b32_e32 v10, v9, v7
	v_lshlrev_b32_e32 v9, v9, v10
	v_cmp_ne_u32_e32 vcc, v9, v7
	v_cndmask_b32_e64 v7, 0, 1, vcc
	v_add_u32_e32 v8, 0xfffffc10, v8
	v_or_b32_e32 v7, v10, v7
	v_lshl_or_b32 v9, v8, 12, v5
	v_cmp_gt_i32_e32 vcc, 1, v8
	v_cndmask_b32_e32 v7, v9, v7, vcc
	v_and_b32_e32 v9, 7, v7
	v_cmp_lt_i32_e32 vcc, 5, v9
	v_cmp_eq_u32_e64 s[0:1], 3, v9
	v_lshrrev_b32_e32 v9, 16, v2
	v_lshrrev_b32_e32 v7, 2, v7
	s_or_b64 vcc, s[0:1], vcc
	v_mul_f16_sdwa v10, v40, v9 dst_sel:DWORD dst_unused:UNUSED_PAD src0_sel:WORD_1 src1_sel:DWORD
	v_addc_co_u32_e32 v7, vcc, 0, v7, vcc
	v_fma_f16 v10, v40, v2, v10
	v_cmp_gt_i32_e32 vcc, 31, v8
	v_cvt_f32_f16_e32 v10, v10
	v_cndmask_b32_e32 v7, v0, v7, vcc
	v_cmp_ne_u32_e32 vcc, 0, v5
	v_cndmask_b32_e64 v5, 0, 1, vcc
	v_lshl_or_b32 v5, v5, 9, v0
	v_cmp_eq_u32_e32 vcc, s10, v8
	v_cndmask_b32_e32 v5, v7, v5, vcc
	v_cvt_f64_f32_e32 v[7:8], v10
	v_lshrrev_b32_e32 v6, 16, v6
	v_and_or_b32 v10, v6, s11, v5
	v_and_b32_e32 v1, 0xffff, v1
	v_mul_f64 v[5:6], v[7:8], s[2:3]
	v_mov_b32_e32 v7, s6
	v_add_co_u32_e32 v3, vcc, s7, v3
	v_lshl_or_b32 v1, v10, 16, v1
	v_addc_co_u32_e32 v4, vcc, v4, v7, vcc
	global_store_dword v[3:4], v1, off
	v_and_or_b32 v1, v6, s4, v5
	v_cmp_ne_u32_e32 vcc, 0, v1
	v_cndmask_b32_e64 v1, 0, 1, vcc
	v_lshrrev_b32_e32 v5, 8, v6
	v_bfe_u32 v7, v6, 20, 11
	v_and_or_b32 v5, v5, s5, v1
	v_sub_u32_e32 v8, 0x3f1, v7
	v_or_b32_e32 v1, 0x1000, v5
	v_med3_i32 v8, v8, 0, 13
	v_lshrrev_b32_e32 v10, v8, v1
	v_lshlrev_b32_e32 v8, v8, v10
	v_mul_f16_sdwa v2, v40, v2 dst_sel:DWORD dst_unused:UNUSED_PAD src0_sel:WORD_1 src1_sel:DWORD
	v_cmp_ne_u32_e32 vcc, v8, v1
	v_fma_f16 v2, v40, v9, -v2
	v_cndmask_b32_e64 v1, 0, 1, vcc
	v_add_u32_e32 v7, 0xfffffc10, v7
	v_cvt_f32_f16_e32 v2, v2
	v_or_b32_e32 v1, v10, v1
	v_lshl_or_b32 v8, v7, 12, v5
	v_cmp_gt_i32_e32 vcc, 1, v7
	v_cndmask_b32_e32 v1, v8, v1, vcc
	v_and_b32_e32 v8, 7, v1
	v_cmp_lt_i32_e32 vcc, 5, v8
	v_cmp_eq_u32_e64 s[0:1], 3, v8
	v_lshrrev_b32_e32 v8, 2, v1
	v_cvt_f64_f32_e32 v[1:2], v2
	s_or_b64 vcc, s[0:1], vcc
	v_addc_co_u32_e32 v8, vcc, 0, v8, vcc
	v_mul_f64 v[1:2], v[1:2], s[2:3]
	v_cmp_gt_i32_e32 vcc, 31, v7
	v_cndmask_b32_e32 v8, v0, v8, vcc
	v_cmp_ne_u32_e32 vcc, 0, v5
	v_cndmask_b32_e64 v5, 0, 1, vcc
	v_lshl_or_b32 v5, v5, 9, v0
	v_cmp_eq_u32_e32 vcc, s10, v7
	v_cndmask_b32_e32 v5, v8, v5, vcc
	v_and_or_b32 v1, v2, s4, v1
	v_lshrrev_b32_e32 v6, 16, v6
	v_cmp_ne_u32_e32 vcc, 0, v1
	v_and_or_b32 v5, v6, s11, v5
	v_cndmask_b32_e64 v1, 0, 1, vcc
	v_lshrrev_b32_e32 v6, 8, v2
	v_bfe_u32 v7, v2, 20, 11
	v_and_or_b32 v1, v6, s5, v1
	v_sub_u32_e32 v8, 0x3f1, v7
	v_or_b32_e32 v6, 0x1000, v1
	v_med3_i32 v8, v8, 0, 13
	v_lshrrev_b32_e32 v9, v8, v6
	v_lshlrev_b32_e32 v8, v8, v9
	v_cmp_ne_u32_e32 vcc, v8, v6
	v_cndmask_b32_e64 v6, 0, 1, vcc
	v_add_u32_e32 v7, 0xfffffc10, v7
	v_or_b32_e32 v6, v9, v6
	v_lshl_or_b32 v8, v7, 12, v1
	v_cmp_gt_i32_e32 vcc, 1, v7
	v_cndmask_b32_e32 v6, v8, v6, vcc
	v_and_b32_e32 v8, 7, v6
	v_cmp_lt_i32_e32 vcc, 5, v8
	v_cmp_eq_u32_e64 s[0:1], 3, v8
	v_lshrrev_b32_e32 v6, 2, v6
	s_or_b64 vcc, s[0:1], vcc
	v_addc_co_u32_e32 v6, vcc, 0, v6, vcc
	v_cmp_gt_i32_e32 vcc, 31, v7
	v_cndmask_b32_e32 v6, v0, v6, vcc
	v_cmp_ne_u32_e32 vcc, 0, v1
	v_cndmask_b32_e64 v1, 0, 1, vcc
	v_lshl_or_b32 v0, v1, 9, v0
	v_cmp_eq_u32_e32 vcc, s10, v7
	v_cndmask_b32_e32 v0, v6, v0, vcc
	v_lshrrev_b32_e32 v1, 16, v2
	v_and_or_b32 v0, v1, s11, v0
	v_and_b32_e32 v1, 0xffff, v5
	v_lshl_or_b32 v2, v0, 16, v1
	v_mov_b32_e32 v1, s6
	v_add_co_u32_e32 v0, vcc, s7, v3
	v_addc_co_u32_e32 v1, vcc, v4, v1, vcc
	global_store_dword v[0:1], v2, off
.LBB0_18:
	s_endpgm
	.section	.rodata,"a",@progbits
	.p2align	6, 0x0
	.amdhsa_kernel bluestein_single_fwd_len1820_dim1_half_op_CI_CI
		.amdhsa_group_segment_fixed_size 7280
		.amdhsa_private_segment_fixed_size 0
		.amdhsa_kernarg_size 104
		.amdhsa_user_sgpr_count 6
		.amdhsa_user_sgpr_private_segment_buffer 1
		.amdhsa_user_sgpr_dispatch_ptr 0
		.amdhsa_user_sgpr_queue_ptr 0
		.amdhsa_user_sgpr_kernarg_segment_ptr 1
		.amdhsa_user_sgpr_dispatch_id 0
		.amdhsa_user_sgpr_flat_scratch_init 0
		.amdhsa_user_sgpr_private_segment_size 0
		.amdhsa_uses_dynamic_stack 0
		.amdhsa_system_sgpr_private_segment_wavefront_offset 0
		.amdhsa_system_sgpr_workgroup_id_x 1
		.amdhsa_system_sgpr_workgroup_id_y 0
		.amdhsa_system_sgpr_workgroup_id_z 0
		.amdhsa_system_sgpr_workgroup_info 0
		.amdhsa_system_vgpr_workitem_id 0
		.amdhsa_next_free_vgpr 217
		.amdhsa_next_free_sgpr 23
		.amdhsa_reserve_vcc 1
		.amdhsa_reserve_flat_scratch 0
		.amdhsa_float_round_mode_32 0
		.amdhsa_float_round_mode_16_64 0
		.amdhsa_float_denorm_mode_32 3
		.amdhsa_float_denorm_mode_16_64 3
		.amdhsa_dx10_clamp 1
		.amdhsa_ieee_mode 1
		.amdhsa_fp16_overflow 0
		.amdhsa_exception_fp_ieee_invalid_op 0
		.amdhsa_exception_fp_denorm_src 0
		.amdhsa_exception_fp_ieee_div_zero 0
		.amdhsa_exception_fp_ieee_overflow 0
		.amdhsa_exception_fp_ieee_underflow 0
		.amdhsa_exception_fp_ieee_inexact 0
		.amdhsa_exception_int_div_zero 0
	.end_amdhsa_kernel
	.text
.Lfunc_end0:
	.size	bluestein_single_fwd_len1820_dim1_half_op_CI_CI, .Lfunc_end0-bluestein_single_fwd_len1820_dim1_half_op_CI_CI
                                        ; -- End function
	.section	.AMDGPU.csdata,"",@progbits
; Kernel info:
; codeLenInByte = 21500
; NumSgprs: 27
; NumVgprs: 217
; ScratchSize: 0
; MemoryBound: 0
; FloatMode: 240
; IeeeMode: 1
; LDSByteSize: 7280 bytes/workgroup (compile time only)
; SGPRBlocks: 3
; VGPRBlocks: 54
; NumSGPRsForWavesPerEU: 27
; NumVGPRsForWavesPerEU: 217
; Occupancy: 1
; WaveLimiterHint : 1
; COMPUTE_PGM_RSRC2:SCRATCH_EN: 0
; COMPUTE_PGM_RSRC2:USER_SGPR: 6
; COMPUTE_PGM_RSRC2:TRAP_HANDLER: 0
; COMPUTE_PGM_RSRC2:TGID_X_EN: 1
; COMPUTE_PGM_RSRC2:TGID_Y_EN: 0
; COMPUTE_PGM_RSRC2:TGID_Z_EN: 0
; COMPUTE_PGM_RSRC2:TIDIG_COMP_CNT: 0
	.type	__hip_cuid_eda6e311538b63bd,@object ; @__hip_cuid_eda6e311538b63bd
	.section	.bss,"aw",@nobits
	.globl	__hip_cuid_eda6e311538b63bd
__hip_cuid_eda6e311538b63bd:
	.byte	0                               ; 0x0
	.size	__hip_cuid_eda6e311538b63bd, 1

	.ident	"AMD clang version 19.0.0git (https://github.com/RadeonOpenCompute/llvm-project roc-6.4.0 25133 c7fe45cf4b819c5991fe208aaa96edf142730f1d)"
	.section	".note.GNU-stack","",@progbits
	.addrsig
	.addrsig_sym __hip_cuid_eda6e311538b63bd
	.amdgpu_metadata
---
amdhsa.kernels:
  - .args:
      - .actual_access:  read_only
        .address_space:  global
        .offset:         0
        .size:           8
        .value_kind:     global_buffer
      - .actual_access:  read_only
        .address_space:  global
        .offset:         8
        .size:           8
        .value_kind:     global_buffer
      - .actual_access:  read_only
        .address_space:  global
        .offset:         16
        .size:           8
        .value_kind:     global_buffer
      - .actual_access:  read_only
        .address_space:  global
        .offset:         24
        .size:           8
        .value_kind:     global_buffer
      - .actual_access:  read_only
        .address_space:  global
        .offset:         32
        .size:           8
        .value_kind:     global_buffer
      - .offset:         40
        .size:           8
        .value_kind:     by_value
      - .address_space:  global
        .offset:         48
        .size:           8
        .value_kind:     global_buffer
      - .address_space:  global
        .offset:         56
        .size:           8
        .value_kind:     global_buffer
      - .address_space:  global
        .offset:         64
        .size:           8
        .value_kind:     global_buffer
      - .address_space:  global
        .offset:         72
        .size:           8
        .value_kind:     global_buffer
      - .offset:         80
        .size:           4
        .value_kind:     by_value
      - .address_space:  global
        .offset:         88
        .size:           8
        .value_kind:     global_buffer
      - .address_space:  global
        .offset:         96
        .size:           8
        .value_kind:     global_buffer
    .group_segment_fixed_size: 7280
    .kernarg_segment_align: 8
    .kernarg_segment_size: 104
    .language:       OpenCL C
    .language_version:
      - 2
      - 0
    .max_flat_workgroup_size: 182
    .name:           bluestein_single_fwd_len1820_dim1_half_op_CI_CI
    .private_segment_fixed_size: 0
    .sgpr_count:     27
    .sgpr_spill_count: 0
    .symbol:         bluestein_single_fwd_len1820_dim1_half_op_CI_CI.kd
    .uniform_work_group_size: 1
    .uses_dynamic_stack: false
    .vgpr_count:     217
    .vgpr_spill_count: 0
    .wavefront_size: 64
amdhsa.target:   amdgcn-amd-amdhsa--gfx906
amdhsa.version:
  - 1
  - 2
...

	.end_amdgpu_metadata
